;; amdgpu-corpus repo=ROCm/rocFFT kind=compiled arch=gfx950 opt=O3
	.text
	.amdgcn_target "amdgcn-amd-amdhsa--gfx950"
	.amdhsa_code_object_version 6
	.protected	bluestein_single_back_len624_dim1_dp_op_CI_CI ; -- Begin function bluestein_single_back_len624_dim1_dp_op_CI_CI
	.globl	bluestein_single_back_len624_dim1_dp_op_CI_CI
	.p2align	8
	.type	bluestein_single_back_len624_dim1_dp_op_CI_CI,@function
bluestein_single_back_len624_dim1_dp_op_CI_CI: ; @bluestein_single_back_len624_dim1_dp_op_CI_CI
; %bb.0:
	s_load_dwordx4 s[8:11], s[0:1], 0x28
	v_mul_u32_u24_e32 v1, 0x4ed, v0
	v_add_u32_sdwa v252, s2, v1 dst_sel:DWORD dst_unused:UNUSED_PAD src0_sel:DWORD src1_sel:WORD_1
	v_mov_b32_e32 v253, 0
	s_waitcnt lgkmcnt(0)
	v_cmp_gt_u64_e32 vcc, s[8:9], v[252:253]
	s_and_saveexec_b64 s[2:3], vcc
	s_cbranch_execz .LBB0_15
; %bb.1:
	s_load_dwordx2 s[8:9], s[0:1], 0x0
	s_load_dwordx2 s[12:13], s[0:1], 0x38
	v_mov_b32_e32 v2, 52
	v_mul_lo_u16_sdwa v1, v1, v2 dst_sel:DWORD dst_unused:UNUSED_PAD src0_sel:WORD_1 src1_sel:DWORD
	v_sub_u16_e32 v216, v0, v1
	v_cmp_gt_u16_e32 vcc, 48, v216
	v_lshlrev_b32_e32 v164, 4, v216
	s_and_saveexec_b64 s[14:15], vcc
	s_cbranch_execz .LBB0_3
; %bb.2:
	s_load_dwordx2 s[2:3], s[0:1], 0x18
	v_mov_b32_e32 v0, s10
	v_mov_b32_e32 v1, s11
	;; [unrolled: 1-line block ×4, first 2 shown]
	s_waitcnt lgkmcnt(0)
	s_load_dwordx4 s[4:7], s[2:3], 0x0
	v_mov_b32_e32 v165, 0
	v_lshl_add_u64 v[50:51], s[8:9], 0, v[164:165]
	v_or_b32_e32 v72, 0x180, v216
	v_or_b32_e32 v102, 0x240, v216
	s_waitcnt lgkmcnt(0)
	v_mad_u64_u32 v[2:3], s[2:3], s6, v252, 0
	v_mad_u64_u32 v[4:5], s[2:3], s4, v216, 0
	v_mov_b32_e32 v6, v3
	v_mov_b32_e32 v8, v5
	v_mad_u64_u32 v[6:7], s[2:3], s7, v252, v[6:7]
	v_mov_b32_e32 v3, v6
	v_mad_u64_u32 v[6:7], s[2:3], s5, v216, v[8:9]
	v_mov_b32_e32 v5, v6
	v_lshl_add_u64 v[48:49], v[2:3], 4, v[0:1]
	v_lshl_add_u64 v[36:37], v[4:5], 4, v[48:49]
	v_mad_u64_u32 v[20:21], s[2:3], s4, v96, v[36:37]
	s_mul_i32 s6, s5, 0x300
	v_add_u32_e32 v21, s6, v21
	v_mad_u64_u32 v[22:23], s[2:3], s4, v96, v[20:21]
	v_add_u32_e32 v23, s6, v23
	global_load_dwordx4 v[0:3], v164, s[8:9]
	global_load_dwordx4 v[8:11], v[20:21], off
	global_load_dwordx4 v[4:7], v[22:23], off
	global_load_dwordx4 v[12:15], v164, s[8:9] offset:768
	global_load_dwordx4 v[16:19], v164, s[8:9] offset:1536
	v_mad_u64_u32 v[52:53], s[2:3], s4, v96, v[22:23]
	v_or_b32_e32 v23, 0xc0, v216
	v_mad_u64_u32 v[20:21], s[2:3], s4, v23, 0
	v_mov_b32_e32 v22, v21
	v_mad_u64_u32 v[22:23], s[2:3], s5, v23, v[22:23]
	v_add_u32_e32 v53, s6, v53
	v_mov_b32_e32 v21, v22
	v_lshl_add_u64 v[38:39], v[20:21], 4, v[48:49]
	global_load_dwordx4 v[32:35], v[36:37], off
	global_load_dwordx4 v[20:23], v[38:39], off
	global_load_dwordx4 v[24:27], v164, s[8:9] offset:2304
	global_load_dwordx4 v[28:31], v164, s[8:9] offset:3072
	v_mad_u64_u32 v[54:55], s[2:3], s4, v78, v[52:53]
	s_mul_i32 s7, s5, 0x600
	v_add_u32_e32 v55, s7, v55
	v_mad_u64_u32 v[56:57], s[2:3], s4, v96, v[54:55]
	s_movk_i32 s2, 0x1000
	global_load_dwordx4 v[44:47], v[52:53], off
	global_load_dwordx4 v[36:39], v[54:55], off
	global_load_dwordx4 v[40:43], v164, s[8:9] offset:3840
	v_add_u32_e32 v57, s6, v57
	v_add_co_u32_e64 v92, s[2:3], s2, v50
	global_load_dwordx4 v[52:55], v[56:57], off
	s_nop 0
	v_addc_co_u32_e64 v93, s[2:3], 0, v51, s[2:3]
	v_mad_u64_u32 v[76:77], s[2:3], s4, v96, v[56:57]
	v_add_u32_e32 v77, s6, v77
	v_mad_u64_u32 v[68:69], s[2:3], s4, v72, 0
	v_mov_b32_e32 v70, v69
	v_mad_u64_u32 v[80:81], s[2:3], s4, v78, v[76:77]
	v_mad_u64_u32 v[70:71], s[2:3], s5, v72, v[70:71]
	v_add_u32_e32 v81, s7, v81
	global_load_dwordx4 v[56:59], v[76:77], off
	global_load_dwordx4 v[60:63], v[92:93], off offset:512
	global_load_dwordx4 v[64:67], v[92:93], off offset:1280
	v_mov_b32_e32 v69, v70
	v_mad_u64_u32 v[94:95], s[2:3], s4, v96, v[80:81]
	v_lshl_add_u64 v[68:69], v[68:69], 4, v[48:49]
	v_lshlrev_b32_e32 v72, 4, v72
	v_add_u32_e32 v95, s6, v95
	global_load_dwordx4 v[68:71], v[68:69], off
	s_waitcnt vmcnt(11)
	v_mul_f64 v[104:105], v[34:35], v[2:3]
	global_load_dwordx4 v[72:75], v72, s[8:9]
	v_mul_f64 v[2:3], v[32:33], v[2:3]
	global_load_dwordx4 v[76:79], v[80:81], off
	s_nop 0
	global_load_dwordx4 v[80:83], v[94:95], off
	global_load_dwordx4 v[84:87], v[92:93], off offset:2816
	global_load_dwordx4 v[88:91], v[92:93], off offset:3584
	v_mad_u64_u32 v[92:93], s[2:3], s4, v96, v[94:95]
	s_movk_i32 s2, 0x2000
	s_nop 0
	v_add_co_u32_e64 v50, s[2:3], s2, v50
	v_add_u32_e32 v93, s6, v93
	s_nop 0
	v_addc_co_u32_e64 v51, s[2:3], 0, v51, s[2:3]
	global_load_dwordx4 v[96:99], v[50:51], off offset:256
	v_mad_u64_u32 v[50:51], s[2:3], s4, v102, 0
	v_mov_b32_e32 v100, v51
	v_mad_u64_u32 v[100:101], s[2:3], s5, v102, v[100:101]
	global_load_dwordx4 v[92:95], v[92:93], off
	v_mov_b32_e32 v51, v100
	v_lshl_add_u64 v[48:49], v[50:51], 4, v[48:49]
	v_lshlrev_b32_e32 v100, 4, v102
	global_load_dwordx4 v[48:51], v[48:49], off
	v_fmac_f64_e32 v[104:105], v[32:33], v[0:1]
	global_load_dwordx4 v[100:103], v100, s[8:9]
	v_fma_f64 v[106:107], v[34:35], v[0:1], -v[2:3]
	v_mul_f64 v[0:1], v[10:11], v[14:15]
	v_mul_f64 v[2:3], v[8:9], v[14:15]
	v_fmac_f64_e32 v[0:1], v[8:9], v[12:13]
	v_fma_f64 v[2:3], v[10:11], v[12:13], -v[2:3]
	ds_write_b128 v164, v[0:3] offset:768
	v_mul_f64 v[0:1], v[6:7], v[18:19]
	v_mul_f64 v[2:3], v[4:5], v[18:19]
	v_fmac_f64_e32 v[0:1], v[4:5], v[16:17]
	v_fma_f64 v[2:3], v[6:7], v[16:17], -v[2:3]
	ds_write_b128 v164, v[0:3] offset:1536
	s_waitcnt vmcnt(16)
	v_mul_f64 v[0:1], v[46:47], v[26:27]
	v_mul_f64 v[2:3], v[44:45], v[26:27]
	v_fmac_f64_e32 v[0:1], v[44:45], v[24:25]
	v_fma_f64 v[2:3], v[46:47], v[24:25], -v[2:3]
	ds_write_b128 v164, v[0:3] offset:2304
	v_mul_f64 v[0:1], v[22:23], v[30:31]
	v_mul_f64 v[2:3], v[20:21], v[30:31]
	v_fmac_f64_e32 v[0:1], v[20:21], v[28:29]
	v_fma_f64 v[2:3], v[22:23], v[28:29], -v[2:3]
	ds_write_b128 v164, v[0:3] offset:3072
	s_waitcnt vmcnt(14)
	v_mul_f64 v[0:1], v[38:39], v[42:43]
	v_mul_f64 v[2:3], v[36:37], v[42:43]
	v_fmac_f64_e32 v[0:1], v[36:37], v[40:41]
	v_fma_f64 v[2:3], v[38:39], v[40:41], -v[2:3]
	ds_write_b128 v164, v[0:3] offset:3840
	s_waitcnt vmcnt(11)
	;; [unrolled: 6-line block ×3, first 2 shown]
	v_mul_f64 v[0:1], v[58:59], v[66:67]
	v_mul_f64 v[2:3], v[56:57], v[66:67]
	v_fmac_f64_e32 v[0:1], v[56:57], v[64:65]
	v_fma_f64 v[2:3], v[58:59], v[64:65], -v[2:3]
	ds_write_b128 v164, v[0:3] offset:5376
	ds_write_b128 v164, v[104:107]
	s_waitcnt vmcnt(8)
	v_mul_f64 v[0:1], v[70:71], v[74:75]
	v_mul_f64 v[2:3], v[68:69], v[74:75]
	v_fmac_f64_e32 v[0:1], v[68:69], v[72:73]
	v_fma_f64 v[2:3], v[70:71], v[72:73], -v[2:3]
	ds_write_b128 v164, v[0:3] offset:6144
	s_waitcnt vmcnt(5)
	v_mul_f64 v[0:1], v[78:79], v[86:87]
	v_mul_f64 v[2:3], v[76:77], v[86:87]
	v_fmac_f64_e32 v[0:1], v[76:77], v[84:85]
	v_fma_f64 v[2:3], v[78:79], v[84:85], -v[2:3]
	ds_write_b128 v164, v[0:3] offset:6912
	s_waitcnt vmcnt(4)
	v_mul_f64 v[0:1], v[82:83], v[90:91]
	v_mul_f64 v[2:3], v[80:81], v[90:91]
	v_fmac_f64_e32 v[0:1], v[80:81], v[88:89]
	v_fma_f64 v[2:3], v[82:83], v[88:89], -v[2:3]
	ds_write_b128 v164, v[0:3] offset:7680
	s_waitcnt vmcnt(2)
	v_mul_f64 v[0:1], v[94:95], v[98:99]
	v_mul_f64 v[2:3], v[92:93], v[98:99]
	v_fmac_f64_e32 v[0:1], v[92:93], v[96:97]
	v_fma_f64 v[2:3], v[94:95], v[96:97], -v[2:3]
	ds_write_b128 v164, v[0:3] offset:8448
	s_waitcnt vmcnt(0)
	v_mul_f64 v[0:1], v[50:51], v[102:103]
	v_mul_f64 v[2:3], v[48:49], v[102:103]
	v_fmac_f64_e32 v[0:1], v[48:49], v[100:101]
	v_fma_f64 v[2:3], v[50:51], v[100:101], -v[2:3]
	ds_write_b128 v164, v[0:3] offset:9216
.LBB0_3:
	s_or_b64 exec, exec, s[14:15]
	s_load_dwordx2 s[4:5], s[0:1], 0x20
	s_load_dwordx2 s[2:3], s[0:1], 0x8
	s_waitcnt lgkmcnt(0)
	; wave barrier
	s_waitcnt lgkmcnt(0)
                                        ; implicit-def: $vgpr4_vgpr5
                                        ; implicit-def: $vgpr8_vgpr9
                                        ; implicit-def: $vgpr20_vgpr21
                                        ; implicit-def: $vgpr28_vgpr29
                                        ; implicit-def: $vgpr36_vgpr37
                                        ; implicit-def: $vgpr48_vgpr49
                                        ; implicit-def: $vgpr52_vgpr53
                                        ; implicit-def: $vgpr44_vgpr45
                                        ; implicit-def: $vgpr40_vgpr41
                                        ; implicit-def: $vgpr32_vgpr33
                                        ; implicit-def: $vgpr24_vgpr25
                                        ; implicit-def: $vgpr16_vgpr17
                                        ; implicit-def: $vgpr12_vgpr13
	s_and_saveexec_b64 s[0:1], vcc
	s_cbranch_execz .LBB0_5
; %bb.4:
	ds_read_b128 v[4:7], v164
	ds_read_b128 v[12:15], v164 offset:768
	ds_read_b128 v[16:19], v164 offset:1536
	;; [unrolled: 1-line block ×12, first 2 shown]
.LBB0_5:
	s_or_b64 exec, exec, s[0:1]
	s_mov_b32 s14, 0x4267c47c
	s_waitcnt lgkmcnt(0)
	v_add_f64 v[116:117], v[14:15], -v[54:55]
	s_mov_b32 s6, 0xe00740e9
	s_mov_b32 s15, 0xbfddbe06
	;; [unrolled: 1-line block ×3, first 2 shown]
	v_add_f64 v[86:87], v[52:53], v[12:13]
	v_add_f64 v[100:101], v[12:13], -v[52:53]
	s_mov_b32 s7, 0x3fec55a7
	v_mul_f64 v[84:85], v[116:117], s[14:15]
	v_add_f64 v[128:129], v[18:19], -v[50:51]
	s_mov_b32 s10, 0x1ea71119
	s_mov_b32 s19, 0xbfea55e2
	v_add_f64 v[96:97], v[54:55], v[14:15]
	v_mul_f64 v[88:89], v[100:101], s[14:15]
	v_fma_f64 v[0:1], s[6:7], v[86:87], v[84:85]
	v_add_f64 v[92:93], v[48:49], v[16:17]
	v_add_f64 v[110:111], v[16:17], -v[48:49]
	s_mov_b32 s11, 0x3fe22d96
	v_mul_f64 v[90:91], v[128:129], s[18:19]
	s_mov_b32 s28, 0x66966769
	v_add_f64 v[0:1], v[4:5], v[0:1]
	v_fma_f64 v[2:3], v[96:97], s[6:7], -v[88:89]
	v_add_f64 v[102:103], v[50:51], v[18:19]
	v_mul_f64 v[94:95], v[110:111], s[18:19]
	v_fma_f64 v[56:57], s[10:11], v[92:93], v[90:91]
	v_add_f64 v[138:139], v[10:11], -v[46:47]
	s_mov_b32 s16, 0xebaa3ed8
	s_mov_b32 s29, 0xbfefc445
	v_add_f64 v[2:3], v[6:7], v[2:3]
	v_add_f64 v[0:1], v[56:57], v[0:1]
	v_fma_f64 v[56:57], v[102:103], s[10:11], -v[94:95]
	v_add_f64 v[104:105], v[8:9], v[44:45]
	v_add_f64 v[124:125], v[8:9], -v[44:45]
	s_mov_b32 s17, 0x3fbedb7d
	v_mul_f64 v[98:99], v[138:139], s[28:29]
	s_mov_b32 s24, 0x2ef20147
	v_add_f64 v[2:3], v[56:57], v[2:3]
	v_add_f64 v[112:113], v[10:11], v[46:47]
	v_mul_f64 v[106:107], v[124:125], s[28:29]
	v_fma_f64 v[56:57], s[16:17], v[104:105], v[98:99]
	v_add_f64 v[144:145], v[22:23], -v[42:43]
	s_mov_b32 s20, 0xb2365da1
	s_mov_b32 s25, 0xbfedeba7
	v_add_f64 v[0:1], v[56:57], v[0:1]
	v_fma_f64 v[56:57], v[112:113], s[16:17], -v[106:107]
	v_add_f64 v[120:121], v[20:21], v[40:41]
	v_add_f64 v[136:137], v[20:21], -v[40:41]
	s_mov_b32 s21, 0xbfd6b1d8
	v_mul_f64 v[108:109], v[144:145], s[24:25]
	s_mov_b32 s34, 0x24c2f84
	v_add_f64 v[2:3], v[56:57], v[2:3]
	v_add_f64 v[122:123], v[22:23], v[42:43]
	v_mul_f64 v[114:115], v[136:137], s[24:25]
	v_fma_f64 v[56:57], s[20:21], v[120:121], v[108:109]
	v_add_f64 v[150:151], v[26:27], -v[38:39]
	s_mov_b32 s22, 0xd0032e0c
	s_mov_b32 s35, 0xbfe5384d
	;; [unrolled: 14-line block ×3, first 2 shown]
	v_add_f64 v[0:1], v[56:57], v[0:1]
	v_fma_f64 v[56:57], v[132:133], s[22:23], -v[126:127]
	v_add_f64 v[140:141], v[28:29], v[32:33]
	s_mov_b32 s27, 0xbfef11f4
	v_mul_f64 v[134:135], v[152:153], s[30:31]
	v_add_f64 v[154:155], v[32:33], -v[28:29]
	v_add_f64 v[2:3], v[56:57], v[2:3]
	v_fma_f64 v[56:57], s[26:27], v[140:141], v[134:135]
	v_add_f64 v[148:149], v[30:31], v[34:35]
	v_mul_f64 v[142:143], v[154:155], s[30:31]
	v_add_f64 v[0:1], v[56:57], v[0:1]
	v_fma_f64 v[56:57], v[148:149], s[26:27], -v[142:143]
	v_add_f64 v[2:3], v[56:57], v[2:3]
	v_mul_lo_u16_e32 v163, 13, v216
	s_waitcnt lgkmcnt(0)
	; wave barrier
	s_and_saveexec_b64 s[0:1], vcc
	s_cbranch_execz .LBB0_7
; %bb.6:
	v_mul_f64 v[76:77], v[96:97], s[26:27]
	s_mov_b32 s45, 0x3fcea1e5
	s_mov_b32 s44, s30
	v_mul_f64 v[72:73], v[102:103], s[6:7]
	v_fma_f64 v[78:79], s[44:45], v[100:101], v[76:77]
	s_mov_b32 s41, 0x3fddbe06
	s_mov_b32 s40, s14
	v_mul_f64 v[156:157], v[116:117], s[30:31]
	v_mul_f64 v[68:69], v[112:113], s[22:23]
	s_mov_b32 s37, 0x3fe5384d
	s_mov_b32 s36, s34
	v_fma_f64 v[74:75], s[14:15], v[110:111], v[72:73]
	v_add_f64 v[78:79], v[6:7], v[78:79]
	v_mul_f64 v[80:81], v[128:129], s[40:41]
	v_fma_f64 v[158:159], s[26:27], v[86:87], v[156:157]
	v_fmac_f64_e32 v[76:77], s[30:31], v[100:101]
	v_mul_f64 v[64:65], v[122:123], s[10:11]
	v_fma_f64 v[70:71], s[36:37], v[124:125], v[68:69]
	v_add_f64 v[74:75], v[74:75], v[78:79]
	s_mov_b32 s47, 0x3fea55e2
	s_mov_b32 s46, s18
	v_mul_f64 v[78:79], v[138:139], s[34:35]
	v_fma_f64 v[82:83], s[6:7], v[92:93], v[80:81]
	v_add_f64 v[158:159], v[4:5], v[158:159]
	v_fmac_f64_e32 v[72:73], s[40:41], v[110:111]
	v_add_f64 v[76:77], v[6:7], v[76:77]
	v_mul_f64 v[62:63], v[132:133], s[20:21]
	s_mov_b32 s43, 0x3fedeba7
	s_mov_b32 s42, s24
	v_fma_f64 v[66:67], s[18:19], v[136:137], v[64:65]
	v_add_f64 v[70:71], v[70:71], v[74:75]
	v_mul_f64 v[74:75], v[144:145], s[46:47]
	v_add_f64 v[82:83], v[82:83], v[158:159]
	v_fma_f64 v[158:159], s[22:23], v[104:105], v[78:79]
	v_fmac_f64_e32 v[68:69], s[34:35], v[124:125]
	v_add_f64 v[72:73], v[72:73], v[76:77]
	v_mul_f64 v[60:61], v[148:149], s[16:17]
	v_fma_f64 v[58:59], s[42:43], v[146:147], v[62:63]
	v_add_f64 v[66:67], v[66:67], v[70:71]
	s_mov_b32 s39, 0x3fefc445
	s_mov_b32 s38, s28
	v_mul_f64 v[70:71], v[150:151], s[24:25]
	v_add_f64 v[82:83], v[158:159], v[82:83]
	v_fma_f64 v[158:159], s[10:11], v[120:121], v[74:75]
	v_fmac_f64_e32 v[64:65], s[46:47], v[136:137]
	v_add_f64 v[68:69], v[68:69], v[72:73]
	v_fma_f64 v[56:57], s[28:29], v[154:155], v[60:61]
	v_add_f64 v[58:59], v[58:59], v[66:67]
	v_mul_f64 v[66:67], v[152:153], s[38:39]
	v_add_f64 v[82:83], v[158:159], v[82:83]
	v_fma_f64 v[158:159], s[20:21], v[130:131], v[70:71]
	v_fmac_f64_e32 v[62:63], s[24:25], v[146:147]
	v_add_f64 v[64:65], v[64:65], v[68:69]
	v_fma_f64 v[72:73], v[86:87], s[26:27], -v[156:157]
	v_add_f64 v[58:59], v[56:57], v[58:59]
	v_fma_f64 v[56:57], s[16:17], v[140:141], v[66:67]
	v_add_f64 v[82:83], v[158:159], v[82:83]
	v_add_f64 v[62:63], v[62:63], v[64:65]
	v_fma_f64 v[64:65], v[130:131], s[20:21], -v[70:71]
	v_fma_f64 v[70:71], v[92:93], s[6:7], -v[80:81]
	v_add_f64 v[72:73], v[4:5], v[72:73]
	v_mul_f64 v[80:81], v[96:97], s[22:23]
	v_add_f64 v[56:57], v[56:57], v[82:83]
	v_fmac_f64_e32 v[60:61], s[38:39], v[154:155]
	v_fma_f64 v[68:69], v[104:105], s[22:23], -v[78:79]
	v_add_f64 v[70:71], v[70:71], v[72:73]
	v_mul_f64 v[76:77], v[102:103], s[16:17]
	v_fma_f64 v[82:83], s[36:37], v[100:101], v[80:81]
	v_add_f64 v[62:63], v[60:61], v[62:63]
	v_fma_f64 v[60:61], v[140:141], s[16:17], -v[66:67]
	v_fma_f64 v[66:67], v[120:121], s[10:11], -v[74:75]
	v_add_f64 v[68:69], v[68:69], v[70:71]
	v_mul_f64 v[72:73], v[112:113], s[10:11]
	v_fma_f64 v[78:79], s[28:29], v[110:111], v[76:77]
	v_add_f64 v[82:83], v[6:7], v[82:83]
	v_add_f64 v[66:67], v[66:67], v[68:69]
	v_mul_f64 v[70:71], v[122:123], s[26:27]
	v_fma_f64 v[74:75], s[46:47], v[124:125], v[72:73]
	v_add_f64 v[78:79], v[78:79], v[82:83]
	;; [unrolled: 4-line block ×3, first 2 shown]
	v_mul_f64 v[158:159], v[116:117], s[34:35]
	v_add_f64 v[60:61], v[60:61], v[64:65]
	v_fma_f64 v[64:65], s[14:15], v[146:147], v[68:69]
	v_add_f64 v[66:67], v[66:67], v[74:75]
	v_mul_f64 v[156:157], v[128:129], s[38:39]
	v_fma_f64 v[166:167], s[22:23], v[86:87], v[158:159]
	v_add_f64 v[64:65], v[64:65], v[66:67]
	v_mul_f64 v[82:83], v[138:139], s[18:19]
	;; [unrolled: 3-line block ×3, first 2 shown]
	v_add_f64 v[66:67], v[66:67], v[166:167]
	v_fma_f64 v[166:167], s[10:11], v[104:105], v[82:83]
	v_fmac_f64_e32 v[80:81], s[34:35], v[100:101]
	v_mul_f64 v[74:75], v[150:151], s[40:41]
	v_add_f64 v[66:67], v[166:167], v[66:67]
	v_fma_f64 v[166:167], s[26:27], v[120:121], v[78:79]
	v_fmac_f64_e32 v[76:77], s[38:39], v[110:111]
	v_add_f64 v[80:81], v[6:7], v[80:81]
	v_add_f64 v[66:67], v[166:167], v[66:67]
	v_fma_f64 v[166:167], s[6:7], v[130:131], v[74:75]
	v_mul_f64 v[168:169], v[148:149], s[20:21]
	v_add_f64 v[76:77], v[76:77], v[80:81]
	v_fmac_f64_e32 v[72:73], s[18:19], v[124:125]
	v_add_f64 v[166:167], v[166:167], v[66:67]
	v_fma_f64 v[66:67], s[42:43], v[154:155], v[168:169]
	v_mul_f64 v[170:171], v[152:153], s[24:25]
	v_fmac_f64_e32 v[70:71], s[44:45], v[136:137]
	v_add_f64 v[72:73], v[72:73], v[76:77]
	v_fma_f64 v[80:81], v[86:87], s[22:23], -v[158:159]
	v_add_f64 v[66:67], v[66:67], v[64:65]
	v_fma_f64 v[64:65], s[20:21], v[140:141], v[170:171]
	v_add_f64 v[70:71], v[70:71], v[72:73]
	v_fma_f64 v[72:73], v[130:131], s[6:7], -v[74:75]
	v_fma_f64 v[74:75], v[120:121], s[26:27], -v[78:79]
	;; [unrolled: 1-line block ×3, first 2 shown]
	v_add_f64 v[80:81], v[4:5], v[80:81]
	v_mul_f64 v[158:159], v[96:97], s[20:21]
	v_add_f64 v[64:65], v[64:65], v[166:167]
	v_fma_f64 v[76:77], v[104:105], s[10:11], -v[82:83]
	v_add_f64 v[78:79], v[78:79], v[80:81]
	v_mul_f64 v[82:83], v[102:103], s[22:23]
	v_fma_f64 v[166:167], s[42:43], v[100:101], v[158:159]
	v_fmac_f64_e32 v[68:69], s[40:41], v[146:147]
	v_add_f64 v[76:77], v[76:77], v[78:79]
	v_mul_f64 v[80:81], v[112:113], s[6:7]
	v_fma_f64 v[156:157], s[34:35], v[110:111], v[82:83]
	v_add_f64 v[166:167], v[6:7], v[166:167]
	v_fmac_f64_e32 v[168:169], s[24:25], v[154:155]
	v_add_f64 v[68:69], v[68:69], v[70:71]
	v_add_f64 v[74:75], v[74:75], v[76:77]
	v_mul_f64 v[78:79], v[122:123], s[16:17]
	v_add_f64 v[156:157], v[156:157], v[166:167]
	v_fma_f64 v[166:167], s[14:15], v[124:125], v[80:81]
	v_add_f64 v[70:71], v[168:169], v[68:69]
	v_fma_f64 v[68:69], v[140:141], s[20:21], -v[170:171]
	v_add_f64 v[72:73], v[72:73], v[74:75]
	v_mul_f64 v[76:77], v[132:133], s[26:27]
	v_fma_f64 v[74:75], s[38:39], v[136:137], v[78:79]
	v_add_f64 v[156:157], v[166:167], v[156:157]
	v_add_f64 v[68:69], v[68:69], v[72:73]
	v_fma_f64 v[72:73], s[30:31], v[146:147], v[76:77]
	v_add_f64 v[74:75], v[74:75], v[156:157]
	v_mul_f64 v[166:167], v[116:117], s[24:25]
	v_add_f64 v[72:73], v[72:73], v[74:75]
	v_mul_f64 v[156:157], v[128:129], s[36:37]
	v_fma_f64 v[74:75], s[20:21], v[86:87], v[166:167]
	v_fmac_f64_e32 v[158:159], s[24:25], v[100:101]
	v_add_f64 v[74:75], v[4:5], v[74:75]
	v_fma_f64 v[168:169], s[22:23], v[92:93], v[156:157]
	v_fmac_f64_e32 v[82:83], s[36:37], v[110:111]
	v_add_f64 v[158:159], v[6:7], v[158:159]
	v_add_f64 v[74:75], v[168:169], v[74:75]
	v_mul_f64 v[168:169], v[138:139], s[40:41]
	v_add_f64 v[82:83], v[82:83], v[158:159]
	v_fmac_f64_e32 v[80:81], s[40:41], v[124:125]
	v_fma_f64 v[170:171], s[6:7], v[104:105], v[168:169]
	v_add_f64 v[80:81], v[80:81], v[82:83]
	v_fmac_f64_e32 v[78:79], s[28:29], v[136:137]
	v_add_f64 v[74:75], v[170:171], v[74:75]
	v_mul_f64 v[170:171], v[144:145], s[28:29]
	v_add_f64 v[78:79], v[78:79], v[80:81]
	v_fmac_f64_e32 v[76:77], s[44:45], v[146:147]
	v_fma_f64 v[80:81], v[86:87], s[20:21], -v[166:167]
	v_fma_f64 v[172:173], s[16:17], v[120:121], v[170:171]
	v_add_f64 v[76:77], v[76:77], v[78:79]
	v_fma_f64 v[78:79], v[92:93], s[22:23], -v[156:157]
	v_add_f64 v[80:81], v[4:5], v[80:81]
	v_add_f64 v[74:75], v[172:173], v[74:75]
	v_mul_f64 v[172:173], v[150:151], s[44:45]
	v_add_f64 v[80:81], v[78:79], v[80:81]
	v_fma_f64 v[158:159], v[104:105], s[6:7], -v[168:169]
	v_fma_f64 v[174:175], s[26:27], v[130:131], v[172:173]
	v_mul_f64 v[176:177], v[148:149], s[10:11]
	v_fma_f64 v[156:157], v[120:121], s[16:17], -v[170:171]
	v_add_f64 v[80:81], v[158:159], v[80:81]
	v_add_f64 v[174:175], v[174:175], v[74:75]
	v_fma_f64 v[74:75], s[18:19], v[154:155], v[176:177]
	v_mul_f64 v[178:179], v[152:153], s[46:47]
	v_fmac_f64_e32 v[176:177], s[46:47], v[154:155]
	v_fma_f64 v[82:83], v[130:131], s[26:27], -v[172:173]
	v_add_f64 v[80:81], v[156:157], v[80:81]
	v_mul_f64 v[166:167], v[96:97], s[16:17]
	v_add_f64 v[78:79], v[176:177], v[76:77]
	v_fma_f64 v[76:77], v[140:141], s[10:11], -v[178:179]
	v_add_f64 v[80:81], v[82:83], v[80:81]
	v_mul_f64 v[158:159], v[102:103], s[26:27]
	v_fma_f64 v[82:83], s[38:39], v[100:101], v[166:167]
	v_add_f64 v[76:77], v[76:77], v[80:81]
	v_mul_f64 v[156:157], v[112:113], s[20:21]
	v_fma_f64 v[80:81], s[44:45], v[110:111], v[158:159]
	v_add_f64 v[82:83], v[6:7], v[82:83]
	v_add_f64 v[80:81], v[80:81], v[82:83]
	v_fma_f64 v[82:83], s[24:25], v[124:125], v[156:157]
	v_mul_f64 v[168:169], v[122:123], s[6:7]
	v_add_f64 v[80:81], v[82:83], v[80:81]
	v_fma_f64 v[82:83], s[14:15], v[136:137], v[168:169]
	v_mul_f64 v[170:171], v[132:133], s[10:11]
	v_add_f64 v[74:75], v[74:75], v[72:73]
	v_fma_f64 v[72:73], s[10:11], v[140:141], v[178:179]
	v_add_f64 v[80:81], v[82:83], v[80:81]
	v_fma_f64 v[82:83], s[46:47], v[146:147], v[170:171]
	v_mul_f64 v[172:173], v[116:117], s[28:29]
	v_add_f64 v[72:73], v[72:73], v[174:175]
	v_add_f64 v[80:81], v[82:83], v[80:81]
	v_fma_f64 v[82:83], s[16:17], v[86:87], v[172:173]
	v_mul_f64 v[174:175], v[128:129], s[30:31]
	v_add_f64 v[82:83], v[4:5], v[82:83]
	v_fma_f64 v[176:177], s[26:27], v[92:93], v[174:175]
	v_add_f64 v[82:83], v[176:177], v[82:83]
	v_mul_f64 v[176:177], v[138:139], s[42:43]
	v_fmac_f64_e32 v[166:167], s[28:29], v[100:101]
	v_fma_f64 v[178:179], s[20:21], v[104:105], v[176:177]
	v_fmac_f64_e32 v[158:159], s[30:31], v[110:111]
	v_add_f64 v[166:167], v[6:7], v[166:167]
	v_add_f64 v[82:83], v[178:179], v[82:83]
	v_mul_f64 v[178:179], v[144:145], s[40:41]
	v_add_f64 v[158:159], v[158:159], v[166:167]
	v_fmac_f64_e32 v[156:157], s[42:43], v[124:125]
	v_fma_f64 v[166:167], v[86:87], s[16:17], -v[172:173]
	v_fma_f64 v[180:181], s[6:7], v[120:121], v[178:179]
	v_add_f64 v[156:157], v[156:157], v[158:159]
	v_fma_f64 v[158:159], v[92:93], s[26:27], -v[174:175]
	v_add_f64 v[166:167], v[4:5], v[166:167]
	v_add_f64 v[82:83], v[180:181], v[82:83]
	v_mul_f64 v[180:181], v[150:151], s[18:19]
	v_fmac_f64_e32 v[168:169], s[40:41], v[136:137]
	v_add_f64 v[158:159], v[158:159], v[166:167]
	v_fma_f64 v[166:167], v[104:105], s[20:21], -v[176:177]
	v_fma_f64 v[182:183], s[10:11], v[130:131], v[180:181]
	v_mul_f64 v[184:185], v[148:149], s[22:23]
	v_add_f64 v[156:157], v[168:169], v[156:157]
	v_fmac_f64_e32 v[170:171], s[18:19], v[146:147]
	v_add_f64 v[158:159], v[166:167], v[158:159]
	v_fma_f64 v[166:167], v[120:121], s[6:7], -v[178:179]
	v_add_f64 v[182:183], v[182:183], v[82:83]
	v_fma_f64 v[82:83], s[36:37], v[154:155], v[184:185]
	v_mul_f64 v[186:187], v[152:153], s[34:35]
	v_add_f64 v[156:157], v[170:171], v[156:157]
	v_add_f64 v[158:159], v[166:167], v[158:159]
	v_fma_f64 v[166:167], v[130:131], s[10:11], -v[180:181]
	v_fmac_f64_e32 v[184:185], s[34:35], v[154:155]
	v_add_f64 v[166:167], v[166:167], v[158:159]
	v_add_f64 v[158:159], v[184:185], v[156:157]
	v_fma_f64 v[156:157], v[140:141], s[22:23], -v[186:187]
	v_mul_f64 v[170:171], v[96:97], s[10:11]
	v_add_f64 v[156:157], v[156:157], v[166:167]
	v_fma_f64 v[166:167], s[46:47], v[100:101], v[170:171]
	v_mul_f64 v[172:173], v[102:103], s[20:21]
	v_add_f64 v[166:167], v[6:7], v[166:167]
	v_fma_f64 v[168:169], s[42:43], v[110:111], v[172:173]
	v_mul_f64 v[174:175], v[112:113], s[26:27]
	v_add_f64 v[166:167], v[168:169], v[166:167]
	v_fma_f64 v[168:169], s[44:45], v[124:125], v[174:175]
	v_mul_f64 v[176:177], v[122:123], s[22:23]
	v_add_f64 v[166:167], v[168:169], v[166:167]
	v_fma_f64 v[168:169], s[34:35], v[136:137], v[176:177]
	v_mul_f64 v[178:179], v[132:133], s[16:17]
	v_add_f64 v[166:167], v[168:169], v[166:167]
	v_fma_f64 v[168:169], s[28:29], v[146:147], v[178:179]
	v_mul_f64 v[116:117], v[116:117], s[18:19]
	v_fmac_f64_e32 v[172:173], s[24:25], v[110:111]
	v_mul_f64 v[110:111], v[86:87], s[6:7]
	v_mul_f64 v[96:97], v[96:97], s[6:7]
	v_add_f64 v[166:167], v[168:169], v[166:167]
	v_fma_f64 v[168:169], s[10:11], v[86:87], v[116:117]
	v_fmac_f64_e32 v[170:171], s[18:19], v[100:101]
	v_fma_f64 v[86:87], v[86:87], s[10:11], -v[116:117]
	v_add_f64 v[88:89], v[88:89], v[96:97]
	v_add_f64 v[84:85], v[110:111], -v[84:85]
	v_mul_f64 v[128:129], v[128:129], s[24:25]
	v_add_f64 v[168:169], v[4:5], v[168:169]
	v_add_f64 v[100:101], v[6:7], v[170:171]
	;; [unrolled: 1-line block ×7, first 2 shown]
	v_fma_f64 v[180:181], s[20:21], v[92:93], v[128:129]
	v_mul_f64 v[138:139], v[138:139], s[30:31]
	v_add_f64 v[6:7], v[18:19], v[6:7]
	v_add_f64 v[4:5], v[16:17], v[4:5]
	;; [unrolled: 1-line block ×3, first 2 shown]
	v_fma_f64 v[180:181], s[26:27], v[104:105], v[138:139]
	v_mul_f64 v[144:145], v[144:145], s[36:37]
	v_fmac_f64_e32 v[174:175], s[30:31], v[124:125]
	v_add_f64 v[100:101], v[172:173], v[100:101]
	v_add_f64 v[6:7], v[10:11], v[6:7]
	;; [unrolled: 1-line block ×4, first 2 shown]
	v_fma_f64 v[80:81], s[22:23], v[140:141], v[186:187]
	v_add_f64 v[168:169], v[180:181], v[168:169]
	v_fma_f64 v[180:181], s[22:23], v[120:121], v[144:145]
	v_mul_f64 v[150:151], v[150:151], s[38:39]
	v_fmac_f64_e32 v[176:177], s[36:37], v[136:137]
	v_add_f64 v[100:101], v[174:175], v[100:101]
	v_add_f64 v[6:7], v[22:23], v[6:7]
	;; [unrolled: 1-line block ×5, first 2 shown]
	v_fma_f64 v[180:181], s[16:17], v[130:131], v[150:151]
	v_mul_f64 v[182:183], v[148:149], s[6:7]
	v_fmac_f64_e32 v[178:179], s[38:39], v[146:147]
	v_add_f64 v[100:101], v[176:177], v[100:101]
	v_add_f64 v[6:7], v[26:27], v[6:7]
	;; [unrolled: 1-line block ×4, first 2 shown]
	v_fma_f64 v[168:169], s[14:15], v[154:155], v[182:183]
	v_fmac_f64_e32 v[182:183], s[40:41], v[154:155]
	v_mul_f64 v[124:125], v[92:93], s[10:11]
	v_mul_f64 v[136:137], v[102:103], s[10:11]
	v_add_f64 v[100:101], v[178:179], v[100:101]
	v_fma_f64 v[92:93], v[92:93], s[20:21], -v[128:129]
	v_add_f64 v[6:7], v[34:35], v[6:7]
	v_add_f64 v[4:5], v[32:33], v[4:5]
	v_mul_f64 v[112:113], v[112:113], s[16:17]
	v_add_f64 v[102:103], v[182:183], v[100:101]
	v_fma_f64 v[100:101], v[104:105], s[26:27], -v[138:139]
	v_add_f64 v[86:87], v[92:93], v[86:87]
	v_add_f64 v[94:95], v[94:95], v[136:137]
	;; [unrolled: 1-line block ×4, first 2 shown]
	v_mul_f64 v[146:147], v[104:105], s[16:17]
	v_fma_f64 v[144:145], v[120:121], s[22:23], -v[144:145]
	v_mul_f64 v[122:123], v[122:123], s[20:21]
	v_add_f64 v[86:87], v[100:101], v[86:87]
	v_add_f64 v[106:107], v[106:107], v[112:113]
	;; [unrolled: 1-line block ×3, first 2 shown]
	v_add_f64 v[90:91], v[124:125], -v[90:91]
	v_add_f64 v[6:7], v[38:39], v[6:7]
	v_add_f64 v[4:5], v[36:37], v[4:5]
	v_mul_f64 v[152:153], v[152:153], s[40:41]
	v_mul_f64 v[120:121], v[120:121], s[20:21]
	v_fma_f64 v[150:151], v[130:131], s[16:17], -v[150:151]
	v_mul_f64 v[132:133], v[132:133], s[22:23]
	v_add_f64 v[86:87], v[144:145], v[86:87]
	v_add_f64 v[104:105], v[114:115], v[122:123]
	;; [unrolled: 1-line block ×3, first 2 shown]
	v_add_f64 v[96:97], v[146:147], -v[98:99]
	v_add_f64 v[84:85], v[90:91], v[84:85]
	v_add_f64 v[6:7], v[42:43], v[6:7]
	;; [unrolled: 1-line block ×4, first 2 shown]
	v_fma_f64 v[166:167], s[6:7], v[140:141], v[152:153]
	v_mul_f64 v[130:131], v[130:131], s[22:23]
	v_fma_f64 v[152:153], v[140:141], s[6:7], -v[152:153]
	v_mul_f64 v[148:149], v[148:149], s[26:27]
	v_add_f64 v[86:87], v[150:151], v[86:87]
	v_add_f64 v[92:93], v[126:127], v[132:133]
	;; [unrolled: 1-line block ×3, first 2 shown]
	v_add_f64 v[94:95], v[120:121], -v[108:109]
	v_add_f64 v[84:85], v[96:97], v[84:85]
	v_add_f64 v[6:7], v[46:47], v[6:7]
	;; [unrolled: 1-line block ×3, first 2 shown]
	v_mul_f64 v[140:141], v[140:141], s[26:27]
	v_add_f64 v[100:101], v[152:153], v[86:87]
	v_add_f64 v[86:87], v[142:143], v[148:149]
	;; [unrolled: 1-line block ×3, first 2 shown]
	v_add_f64 v[92:93], v[130:131], -v[118:119]
	v_add_f64 v[84:85], v[94:95], v[84:85]
	v_add_f64 v[6:7], v[50:51], v[6:7]
	;; [unrolled: 1-line block ×4, first 2 shown]
	v_add_f64 v[88:89], v[140:141], -v[134:135]
	v_add_f64 v[84:85], v[92:93], v[84:85]
	v_add_f64 v[6:7], v[54:55], v[6:7]
	v_add_f64 v[4:5], v[52:53], v[4:5]
	v_lshlrev_b32_e32 v8, 4, v163
	v_add_f64 v[166:167], v[166:167], v[180:181]
	v_add_f64 v[84:85], v[88:89], v[84:85]
	ds_write_b128 v8, v[4:7]
	ds_write_b128 v8, v[84:87] offset:16
	ds_write_b128 v8, v[100:103] offset:32
	;; [unrolled: 1-line block ×12, first 2 shown]
.LBB0_7:
	s_or_b64 exec, exec, s[0:1]
	s_movk_i32 s10, 0x4f
	v_add_u16_e32 v12, 52, v216
	v_mul_lo_u16_sdwa v4, v216, s10 dst_sel:DWORD dst_unused:UNUSED_PAD src0_sel:BYTE_0 src1_sel:DWORD
	v_mul_lo_u16_sdwa v13, v12, s10 dst_sel:DWORD dst_unused:UNUSED_PAD src0_sel:BYTE_0 src1_sel:DWORD
	v_lshrrev_b16_e32 v126, 10, v4
	v_lshrrev_b16_e32 v128, 10, v13
	v_mul_lo_u16_e32 v4, 13, v126
	v_mul_lo_u16_e32 v13, 13, v128
	v_sub_u16_e32 v4, v216, v4
	v_sub_u16_e32 v12, v12, v13
	v_and_b32_e32 v127, 0xff, v4
	v_and_b32_e32 v129, 0xff, v12
	v_mad_u64_u32 v[28:29], s[0:1], v127, 48, s[2:3]
	v_mad_u64_u32 v[30:31], s[0:1], v129, 48, s[2:3]
	s_load_dwordx4 s[4:7], s[4:5], 0x0
	s_waitcnt lgkmcnt(0)
	; wave barrier
	s_waitcnt lgkmcnt(0)
	global_load_dwordx4 v[4:7], v[28:29], off offset:16
	global_load_dwordx4 v[8:11], v[28:29], off
	global_load_dwordx4 v[12:15], v[30:31], off offset:32
	global_load_dwordx4 v[16:19], v[30:31], off offset:16
	;; [unrolled: 1-line block ×3, first 2 shown]
	global_load_dwordx4 v[24:27], v[30:31], off
	v_add_u16_e32 v28, 0x68, v216
	v_mul_lo_u16_sdwa v29, v28, s10 dst_sel:DWORD dst_unused:UNUSED_PAD src0_sel:BYTE_0 src1_sel:DWORD
	v_lshrrev_b16_e32 v130, 10, v29
	v_mul_lo_u16_e32 v29, 13, v130
	v_sub_u16_e32 v28, v28, v29
	v_and_b32_e32 v131, 0xff, v28
	v_mad_u64_u32 v[40:41], s[0:1], v131, 48, s[2:3]
	global_load_dwordx4 v[36:39], v[40:41], off
	global_load_dwordx4 v[32:35], v[40:41], off offset:16
	global_load_dwordx4 v[28:31], v[40:41], off offset:32
	v_mov_b32_e32 v42, 4
	v_lshlrev_b32_sdwa v161, v42, v216 dst_sel:DWORD dst_unused:UNUSED_PAD src0_sel:DWORD src1_sel:WORD_0
	ds_read_b128 v[42:45], v161
	ds_read_b128 v[46:49], v161 offset:832
	ds_read_b128 v[50:53], v161 offset:4992
	;; [unrolled: 1-line block ×11, first 2 shown]
	s_waitcnt lgkmcnt(0)
	; wave barrier
	s_waitcnt lgkmcnt(0)
	v_mov_b64_e32 v[40:41], s[2:3]
	s_movk_i32 s0, 0x50
	s_mov_b32 s2, 0xe8584caa
	s_mov_b32 s3, 0x3febb67a
	s_movk_i32 s15, 0x1000
	s_movk_i32 s14, 0x2000
	v_mov_b32_e32 v165, 0
	v_lshlrev_b32_e32 v214, 4, v216
	s_waitcnt vmcnt(6)
	v_mul_f64 v[110:111], v[84:85], v[14:15]
	v_mul_f64 v[96:97], v[50:51], v[6:7]
	;; [unrolled: 1-line block ×3, first 2 shown]
	s_waitcnt vmcnt(4)
	v_mul_f64 v[100:101], v[74:75], v[22:23]
	v_mul_f64 v[98:99], v[76:77], v[22:23]
	v_fmac_f64_e32 v[92:93], v[60:61], v[8:9]
	v_fmac_f64_e32 v[96:97], v[52:53], v[4:5]
	;; [unrolled: 1-line block ×3, first 2 shown]
	v_mul_f64 v[90:91], v[60:61], v[10:11]
	v_mul_f64 v[94:95], v[52:53], v[6:7]
	s_waitcnt vmcnt(2)
	v_mul_f64 v[114:115], v[72:73], v[38:39]
	v_mul_f64 v[116:117], v[70:71], v[38:39]
	;; [unrolled: 1-line block ×5, first 2 shown]
	v_fma_f64 v[52:53], v[74:75], v[20:21], -v[98:99]
	v_fma_f64 v[74:75], v[82:83], v[12:13], -v[110:111]
	;; [unrolled: 1-line block ×3, first 2 shown]
	v_fmac_f64_e32 v[116:117], v[72:73], v[36:37]
	v_add_f64 v[70:71], v[44:45], -v[96:97]
	v_add_f64 v[72:73], v[92:93], -v[100:101]
	v_mul_f64 v[102:103], v[68:69], v[26:27]
	v_mul_f64 v[108:109], v[54:55], v[18:19]
	v_fma_f64 v[58:59], v[58:59], v[8:9], -v[90:91]
	v_fma_f64 v[50:51], v[50:51], v[4:5], -v[94:95]
	v_fmac_f64_e32 v[104:105], v[68:69], v[24:25]
	v_fma_f64 v[68:69], v[54:55], v[16:17], -v[106:107]
	v_fma_f64 v[54:55], v[44:45], 2.0, -v[70:71]
	v_fma_f64 v[44:45], v[92:93], 2.0, -v[72:73]
	v_fma_f64 v[66:67], v[66:67], v[24:25], -v[102:103]
	v_fmac_f64_e32 v[108:109], v[56:57], v[16:17]
	v_fmac_f64_e32 v[112:113], v[84:85], v[12:13]
	v_add_f64 v[60:61], v[42:43], -v[50:51]
	v_add_f64 v[56:57], v[58:59], -v[52:53]
	;; [unrolled: 1-line block ×3, first 2 shown]
	v_fma_f64 v[50:51], v[42:43], 2.0, -v[60:61]
	v_fma_f64 v[42:43], v[58:59], 2.0, -v[56:57]
	;; [unrolled: 1-line block ×3, first 2 shown]
	v_add_f64 v[54:55], v[60:61], -v[72:73]
	v_add_f64 v[56:57], v[70:71], v[56:57]
	v_add_f64 v[76:77], v[46:47], -v[68:69]
	v_add_f64 v[84:85], v[48:49], -v[108:109]
	;; [unrolled: 1-line block ×4, first 2 shown]
	s_waitcnt vmcnt(1)
	v_mul_f64 v[120:121], v[78:79], v[34:35]
	s_waitcnt vmcnt(0)
	v_mul_f64 v[124:125], v[86:87], v[30:31]
	v_fma_f64 v[58:59], v[60:61], 2.0, -v[54:55]
	v_fma_f64 v[60:61], v[70:71], 2.0, -v[56:57]
	;; [unrolled: 1-line block ×6, first 2 shown]
	v_fmac_f64_e32 v[120:121], v[80:81], v[32:33]
	v_fmac_f64_e32 v[124:125], v[88:89], v[28:29]
	v_add_f64 v[46:47], v[68:69], -v[46:47]
	v_add_f64 v[48:49], v[70:71], -v[48:49]
	v_mul_f64 v[118:119], v[80:81], v[34:35]
	v_mul_f64 v[122:123], v[88:89], v[30:31]
	v_fma_f64 v[66:67], v[68:69], 2.0, -v[46:47]
	v_fma_f64 v[68:69], v[70:71], 2.0, -v[48:49]
	v_add_f64 v[70:71], v[76:77], -v[74:75]
	v_add_f64 v[72:73], v[84:85], v[72:73]
	v_add_f64 v[88:89], v[64:65], -v[120:121]
	v_add_f64 v[92:93], v[116:117], -v[124:125]
	v_fma_f64 v[78:79], v[78:79], v[32:33], -v[118:119]
	v_fma_f64 v[80:81], v[86:87], v[28:29], -v[122:123]
	v_fma_f64 v[74:75], v[76:77], 2.0, -v[70:71]
	v_fma_f64 v[76:77], v[84:85], 2.0, -v[72:73]
	;; [unrolled: 1-line block ×4, first 2 shown]
	v_add_f64 v[86:87], v[62:63], -v[78:79]
	v_add_f64 v[90:91], v[82:83], -v[80:81]
	;; [unrolled: 1-line block ×4, first 2 shown]
	v_fma_f64 v[78:79], v[62:63], 2.0, -v[86:87]
	v_fma_f64 v[62:63], v[82:83], 2.0, -v[90:91]
	;; [unrolled: 1-line block ×3, first 2 shown]
	v_add_f64 v[84:85], v[88:89], v[90:91]
	v_mul_u32_u24_e32 v90, 52, v126
	v_fma_f64 v[50:51], v[50:51], 2.0, -v[42:43]
	v_add_lshl_u32 v217, v90, v127, 4
	ds_write_b128 v217, v[50:53]
	ds_write_b128 v217, v[58:61] offset:208
	ds_write_b128 v217, v[42:45] offset:416
	;; [unrolled: 1-line block ×3, first 2 shown]
	v_mul_u32_u24_e32 v42, 52, v128
	v_add_f64 v[62:63], v[78:79], -v[62:63]
	v_add_lshl_u32 v160, v42, v129, 4
	v_mul_u32_u24_e32 v42, 52, v130
	v_fma_f64 v[78:79], v[78:79], 2.0, -v[62:63]
	v_add_f64 v[82:83], v[86:87], -v[92:93]
	v_add_lshl_u32 v215, v42, v131, 4
	v_mad_u64_u32 v[60:61], s[0:1], v216, s0, v[40:41]
	v_fma_f64 v[86:87], v[86:87], 2.0, -v[82:83]
	v_fma_f64 v[88:89], v[88:89], 2.0, -v[84:85]
	ds_write_b128 v160, v[66:69]
	ds_write_b128 v160, v[74:77] offset:208
	ds_write_b128 v160, v[46:49] offset:416
	;; [unrolled: 1-line block ×3, first 2 shown]
	ds_write_b128 v215, v[78:81]
	ds_write_b128 v215, v[86:89] offset:208
	ds_write_b128 v215, v[62:65] offset:416
	;; [unrolled: 1-line block ×3, first 2 shown]
	s_waitcnt lgkmcnt(0)
	; wave barrier
	s_waitcnt lgkmcnt(0)
	global_load_dwordx4 v[52:55], v[60:61], off offset:624
	global_load_dwordx4 v[48:51], v[60:61], off offset:640
	;; [unrolled: 1-line block ×5, first 2 shown]
	ds_read_b128 v[62:65], v161
	ds_read_b128 v[66:69], v161 offset:832
	ds_read_b128 v[70:73], v161 offset:1664
	;; [unrolled: 1-line block ×11, first 2 shown]
	s_mov_b32 s1, 0xbfebb67a
	s_mov_b32 s0, s2
	s_waitcnt lgkmcnt(0)
	; wave barrier
	s_waitcnt vmcnt(4) lgkmcnt(0)
	v_mul_f64 v[110:111], v[72:73], v[54:55]
	v_fma_f64 v[110:111], v[70:71], v[52:53], -v[110:111]
	v_mul_f64 v[112:113], v[70:71], v[54:55]
	s_waitcnt vmcnt(3)
	v_mul_f64 v[70:71], v[80:81], v[50:51]
	v_fmac_f64_e32 v[112:113], v[72:73], v[52:53]
	v_fma_f64 v[70:71], v[78:79], v[48:49], -v[70:71]
	v_mul_f64 v[72:73], v[78:79], v[50:51]
	s_waitcnt vmcnt(2)
	v_mul_f64 v[78:79], v[88:89], v[46:47]
	v_fmac_f64_e32 v[72:73], v[80:81], v[48:49]
	;; [unrolled: 5-line block ×4, first 2 shown]
	v_fma_f64 v[94:95], v[102:103], v[56:57], -v[94:95]
	v_mul_f64 v[96:97], v[102:103], v[58:59]
	v_mul_f64 v[102:103], v[76:77], v[54:55]
	v_fmac_f64_e32 v[96:97], v[104:105], v[56:57]
	v_fma_f64 v[102:103], v[74:75], v[52:53], -v[102:103]
	v_mul_f64 v[104:105], v[74:75], v[54:55]
	v_mul_f64 v[74:75], v[84:85], v[50:51]
	v_fma_f64 v[114:115], v[82:83], v[48:49], -v[74:75]
	v_mul_f64 v[74:75], v[92:93], v[46:47]
	v_fma_f64 v[118:119], v[90:91], v[44:45], -v[74:75]
	v_mul_f64 v[90:91], v[90:91], v[46:47]
	v_mul_f64 v[74:75], v[100:101], v[42:43]
	v_fmac_f64_e32 v[90:91], v[92:93], v[44:45]
	v_fma_f64 v[92:93], v[98:99], v[40:41], -v[74:75]
	v_mul_f64 v[98:99], v[98:99], v[42:43]
	v_mul_f64 v[74:75], v[108:109], v[58:59]
	v_fmac_f64_e32 v[98:99], v[100:101], v[40:41]
	v_fma_f64 v[100:101], v[106:107], v[56:57], -v[74:75]
	v_add_f64 v[74:75], v[62:63], v[70:71]
	v_mul_f64 v[116:117], v[82:83], v[50:51]
	v_add_f64 v[82:83], v[74:75], v[86:87]
	v_add_f64 v[74:75], v[70:71], v[86:87]
	v_fmac_f64_e32 v[62:63], -0.5, v[74:75]
	v_add_f64 v[74:75], v[72:73], -v[88:89]
	v_fmac_f64_e32 v[116:117], v[84:85], v[48:49]
	v_fma_f64 v[84:85], s[2:3], v[74:75], v[62:63]
	v_fmac_f64_e32 v[62:63], s[0:1], v[74:75]
	v_add_f64 v[74:75], v[64:65], v[72:73]
	v_add_f64 v[72:73], v[72:73], v[88:89]
	v_mul_f64 v[106:107], v[106:107], v[58:59]
	v_fmac_f64_e32 v[64:65], -0.5, v[72:73]
	v_add_f64 v[70:71], v[70:71], -v[86:87]
	v_fmac_f64_e32 v[106:107], v[108:109], v[56:57]
	v_add_f64 v[108:109], v[74:75], v[88:89]
	v_fma_f64 v[88:89], s[0:1], v[70:71], v[64:65]
	v_fmac_f64_e32 v[64:65], s[2:3], v[70:71]
	v_add_f64 v[70:71], v[110:111], v[78:79]
	v_add_f64 v[86:87], v[70:71], v[94:95]
	;; [unrolled: 1-line block ×3, first 2 shown]
	v_fmac_f64_e32 v[110:111], -0.5, v[70:71]
	v_add_f64 v[70:71], v[80:81], -v[96:97]
	v_fmac_f64_e32 v[104:105], v[76:77], v[52:53]
	v_fma_f64 v[76:77], s[2:3], v[70:71], v[110:111]
	v_fmac_f64_e32 v[110:111], s[0:1], v[70:71]
	v_add_f64 v[70:71], v[112:113], v[80:81]
	v_add_f64 v[120:121], v[70:71], v[96:97]
	;; [unrolled: 1-line block ×3, first 2 shown]
	v_fmac_f64_e32 v[112:113], -0.5, v[70:71]
	v_add_f64 v[70:71], v[78:79], -v[94:95]
	v_fma_f64 v[80:81], s[0:1], v[70:71], v[112:113]
	v_mul_f64 v[94:95], v[80:81], s[2:3]
	v_fmac_f64_e32 v[94:95], 0.5, v[76:77]
	v_fmac_f64_e32 v[112:113], s[2:3], v[70:71]
	v_add_f64 v[70:71], v[82:83], v[86:87]
	v_add_f64 v[74:75], v[84:85], v[94:95]
	v_add_f64 v[82:83], v[82:83], -v[86:87]
	v_add_f64 v[86:87], v[84:85], -v[94:95]
	v_add_f64 v[94:95], v[66:67], v[114:115]
	v_mul_f64 v[96:97], v[110:111], -0.5
	v_add_f64 v[72:73], v[108:109], v[120:121]
	v_add_f64 v[84:85], v[108:109], -v[120:121]
	v_add_f64 v[108:109], v[94:95], v[92:93]
	v_add_f64 v[94:95], v[114:115], v[92:93]
	v_fmac_f64_e32 v[96:97], s[2:3], v[112:113]
	v_mul_f64 v[112:113], v[112:113], -0.5
	v_fmac_f64_e32 v[66:67], -0.5, v[94:95]
	v_add_f64 v[94:95], v[116:117], -v[98:99]
	v_mul_f64 v[122:123], v[76:77], s[0:1]
	v_fmac_f64_e32 v[112:113], s[0:1], v[110:111]
	v_fma_f64 v[110:111], s[2:3], v[94:95], v[66:67]
	v_fmac_f64_e32 v[66:67], s[0:1], v[94:95]
	v_add_f64 v[94:95], v[68:69], v[116:117]
	v_fmac_f64_e32 v[122:123], 0.5, v[80:81]
	v_add_f64 v[80:81], v[64:65], v[112:113]
	v_add_f64 v[64:65], v[64:65], -v[112:113]
	v_add_f64 v[112:113], v[94:95], v[98:99]
	v_add_f64 v[94:95], v[116:117], v[98:99]
	v_fmac_f64_e32 v[68:69], -0.5, v[94:95]
	v_add_f64 v[92:93], v[114:115], -v[92:93]
	v_fma_f64 v[114:115], s[0:1], v[92:93], v[68:69]
	v_fmac_f64_e32 v[68:69], s[2:3], v[92:93]
	v_add_f64 v[92:93], v[102:103], v[118:119]
	v_add_f64 v[116:117], v[92:93], v[100:101]
	;; [unrolled: 1-line block ×3, first 2 shown]
	v_fmac_f64_e32 v[102:103], -0.5, v[92:93]
	v_add_f64 v[92:93], v[90:91], -v[106:107]
	v_add_f64 v[78:79], v[62:63], v[96:97]
	v_add_f64 v[62:63], v[62:63], -v[96:97]
	v_fma_f64 v[96:97], s[2:3], v[92:93], v[102:103]
	v_fmac_f64_e32 v[102:103], s[0:1], v[92:93]
	v_add_f64 v[92:93], v[104:105], v[90:91]
	v_add_f64 v[90:91], v[90:91], v[106:107]
	v_fmac_f64_e32 v[104:105], -0.5, v[90:91]
	v_add_f64 v[90:91], v[118:119], -v[100:101]
	v_fma_f64 v[100:101], s[0:1], v[90:91], v[104:105]
	v_fmac_f64_e32 v[104:105], s[2:3], v[90:91]
	v_add_f64 v[76:77], v[88:89], v[122:123]
	v_add_f64 v[88:89], v[88:89], -v[122:123]
	v_add_f64 v[120:121], v[92:93], v[106:107]
	v_mul_f64 v[106:107], v[100:101], s[2:3]
	v_mul_f64 v[118:119], v[102:103], -0.5
	v_mul_f64 v[122:123], v[96:97], s[0:1]
	v_mul_f64 v[124:125], v[104:105], -0.5
	v_fmac_f64_e32 v[106:107], 0.5, v[96:97]
	v_fmac_f64_e32 v[118:119], s[2:3], v[104:105]
	v_fmac_f64_e32 v[122:123], 0.5, v[100:101]
	v_fmac_f64_e32 v[124:125], s[0:1], v[102:103]
	v_add_f64 v[90:91], v[108:109], v[116:117]
	v_add_f64 v[94:95], v[110:111], v[106:107]
	;; [unrolled: 1-line block ×6, first 2 shown]
	v_add_f64 v[102:103], v[108:109], -v[116:117]
	v_add_f64 v[106:107], v[110:111], -v[106:107]
	;; [unrolled: 1-line block ×6, first 2 shown]
	ds_write_b128 v161, v[70:73]
	ds_write_b128 v161, v[74:77] offset:832
	ds_write_b128 v161, v[78:81] offset:1664
	ds_write_b128 v161, v[82:85] offset:2496
	ds_write_b128 v161, v[86:89] offset:3328
	ds_write_b128 v161, v[62:65] offset:4160
	ds_write_b128 v161, v[90:93] offset:4992
	ds_write_b128 v161, v[94:97] offset:5824
	ds_write_b128 v161, v[98:101] offset:6656
	ds_write_b128 v161, v[102:105] offset:7488
	ds_write_b128 v161, v[106:109] offset:8320
	ds_write_b128 v161, v[66:69] offset:9152
	v_lshlrev_b32_e32 v62, 6, v216
	v_sub_co_u32_e64 v82, s[0:1], v60, v62
	s_waitcnt lgkmcnt(0)
	s_nop 0
	v_subbrev_co_u32_e64 v83, s[0:1], 0, v61, s[0:1]
	v_add_co_u32_e64 v80, s[0:1], s15, v82
	; wave barrier
	s_nop 1
	v_addc_co_u32_e64 v81, s[0:1], 0, v83, s[0:1]
	global_load_dwordx4 v[60:63], v[80:81], off offset:688
	global_load_dwordx4 v[64:67], v[80:81], off offset:1520
	;; [unrolled: 1-line block ×5, first 2 shown]
	v_add_co_u32_e64 v80, s[0:1], s14, v82
	s_nop 1
	v_addc_co_u32_e64 v81, s[0:1], 0, v83, s[0:1]
	global_load_dwordx4 v[80:83], v[80:81], off offset:752
	ds_read_b128 v[84:87], v161
	ds_read_b128 v[92:95], v161 offset:832
	ds_read_b128 v[88:91], v161 offset:4992
	;; [unrolled: 1-line block ×11, first 2 shown]
	s_waitcnt vmcnt(5) lgkmcnt(9)
	v_mul_f64 v[132:133], v[90:91], v[62:63]
	v_fma_f64 v[132:133], v[88:89], v[60:61], -v[132:133]
	v_mul_f64 v[134:135], v[88:89], v[62:63]
	s_waitcnt vmcnt(4) lgkmcnt(8)
	v_mul_f64 v[88:89], v[98:99], v[66:67]
	v_fma_f64 v[136:137], v[96:97], v[64:65], -v[88:89]
	s_waitcnt vmcnt(3) lgkmcnt(5)
	v_mul_f64 v[88:89], v[106:107], v[70:71]
	v_fma_f64 v[140:141], v[104:105], v[68:69], -v[88:89]
	;; [unrolled: 3-line block ×3, first 2 shown]
	s_waitcnt vmcnt(1) lgkmcnt(1)
	v_mul_f64 v[88:89], v[122:123], v[78:79]
	v_mul_f64 v[138:139], v[96:97], v[66:67]
	v_mul_f64 v[142:143], v[104:105], v[70:71]
	v_mul_f64 v[146:147], v[112:113], v[74:75]
	v_fma_f64 v[148:149], v[120:121], v[76:77], -v[88:89]
	v_mul_f64 v[150:151], v[120:121], v[78:79]
	s_waitcnt vmcnt(0) lgkmcnt(0)
	v_mul_f64 v[88:89], v[130:131], v[82:83]
	v_mul_f64 v[154:155], v[128:129], v[82:83]
	v_fmac_f64_e32 v[134:135], v[90:91], v[60:61]
	v_fmac_f64_e32 v[138:139], v[98:99], v[64:65]
	;; [unrolled: 1-line block ×5, first 2 shown]
	v_fma_f64 v[152:153], v[128:129], v[80:81], -v[88:89]
	v_fmac_f64_e32 v[154:155], v[130:131], v[80:81]
	v_add_f64 v[88:89], v[84:85], -v[132:133]
	v_add_f64 v[90:91], v[86:87], -v[134:135]
	v_add_f64 v[96:97], v[92:93], -v[136:137]
	v_add_f64 v[98:99], v[94:95], -v[138:139]
	v_add_f64 v[104:105], v[100:101], -v[140:141]
	v_add_f64 v[106:107], v[102:103], -v[142:143]
	v_add_f64 v[112:113], v[108:109], -v[144:145]
	v_add_f64 v[114:115], v[110:111], -v[146:147]
	v_add_f64 v[120:121], v[116:117], -v[148:149]
	v_add_f64 v[122:123], v[118:119], -v[150:151]
	v_add_f64 v[128:129], v[124:125], -v[152:153]
	v_add_f64 v[130:131], v[126:127], -v[154:155]
	v_fma_f64 v[84:85], v[84:85], 2.0, -v[88:89]
	v_fma_f64 v[86:87], v[86:87], 2.0, -v[90:91]
	v_fma_f64 v[92:93], v[92:93], 2.0, -v[96:97]
	v_fma_f64 v[94:95], v[94:95], 2.0, -v[98:99]
	v_fma_f64 v[100:101], v[100:101], 2.0, -v[104:105]
	v_fma_f64 v[102:103], v[102:103], 2.0, -v[106:107]
	v_fma_f64 v[108:109], v[108:109], 2.0, -v[112:113]
	v_fma_f64 v[110:111], v[110:111], 2.0, -v[114:115]
	v_fma_f64 v[116:117], v[116:117], 2.0, -v[120:121]
	v_fma_f64 v[118:119], v[118:119], 2.0, -v[122:123]
	v_fma_f64 v[124:125], v[124:125], 2.0, -v[128:129]
	v_fma_f64 v[126:127], v[126:127], 2.0, -v[130:131]
	ds_write_b128 v161, v[84:87]
	ds_write_b128 v161, v[88:91] offset:4992
	ds_write_b128 v161, v[92:95] offset:832
	;; [unrolled: 1-line block ×11, first 2 shown]
	s_waitcnt lgkmcnt(0)
	; wave barrier
	s_waitcnt lgkmcnt(0)
	s_and_saveexec_b64 s[2:3], vcc
	s_cbranch_execz .LBB0_9
; %bb.8:
	s_add_u32 s10, s8, 0x2700
	s_addc_u32 s11, s9, 0
	global_load_dwordx4 v[136:139], v164, s[10:11]
	global_load_dwordx4 v[132:135], v164, s[10:11] offset:768
	v_lshl_add_u64 v[156:157], s[10:11], 0, v[164:165]
	v_add_co_u32_e64 v158, s[0:1], s15, v156
	global_load_dwordx4 v[140:143], v164, s[10:11] offset:1536
	global_load_dwordx4 v[144:147], v164, s[10:11] offset:2304
	;; [unrolled: 1-line block ×4, first 2 shown]
	v_addc_co_u32_e64 v159, s[0:1], 0, v157, s[0:1]
	global_load_dwordx4 v[166:169], v[158:159], off offset:512
	global_load_dwordx4 v[170:173], v[158:159], off offset:1280
	v_or_b32_e32 v162, 0x1800, v164
	global_load_dwordx4 v[174:177], v162, s[10:11]
	global_load_dwordx4 v[178:181], v[158:159], off offset:2816
	global_load_dwordx4 v[182:185], v[158:159], off offset:3584
	v_add_co_u32_e64 v156, s[0:1], s14, v156
	v_or_b32_e32 v162, 0x2400, v164
	s_nop 0
	v_addc_co_u32_e64 v157, s[0:1], 0, v157, s[0:1]
	global_load_dwordx4 v[156:159], v[156:157], off offset:256
	ds_read_b128 v[190:193], v161
	global_load_dwordx4 v[186:189], v162, s[10:11]
	s_waitcnt vmcnt(12) lgkmcnt(0)
	v_mul_f64 v[194:195], v[192:193], v[138:139]
	v_mul_f64 v[196:197], v[190:191], v[138:139]
	v_fma_f64 v[194:195], v[190:191], v[136:137], -v[194:195]
	v_fmac_f64_e32 v[196:197], v[192:193], v[136:137]
	ds_write_b128 v161, v[194:197]
	ds_read_b128 v[136:139], v214 offset:768
	ds_read_b128 v[190:193], v214 offset:1536
	;; [unrolled: 1-line block ×10, first 2 shown]
	s_waitcnt vmcnt(11) lgkmcnt(9)
	v_mul_f64 v[230:231], v[138:139], v[134:135]
	v_mul_f64 v[232:233], v[136:137], v[134:135]
	s_waitcnt vmcnt(10) lgkmcnt(8)
	v_mul_f64 v[234:235], v[192:193], v[142:143]
	v_mul_f64 v[134:135], v[190:191], v[142:143]
	;; [unrolled: 3-line block ×8, first 2 shown]
	v_fma_f64 v[230:231], v[136:137], v[132:133], -v[230:231]
	v_fmac_f64_e32 v[232:233], v[138:139], v[132:133]
	s_waitcnt vmcnt(3) lgkmcnt(1)
	v_mul_f64 v[248:249], v[224:225], v[180:181]
	v_mul_f64 v[176:177], v[222:223], v[180:181]
	s_waitcnt vmcnt(2) lgkmcnt(0)
	v_mul_f64 v[250:251], v[228:229], v[184:185]
	v_mul_f64 v[180:181], v[226:227], v[184:185]
	v_fma_f64 v[132:133], v[190:191], v[140:141], -v[234:235]
	v_fmac_f64_e32 v[134:135], v[192:193], v[140:141]
	v_fma_f64 v[140:141], v[194:195], v[144:145], -v[236:237]
	v_fmac_f64_e32 v[142:143], v[196:197], v[144:145]
	;; [unrolled: 2-line block ×7, first 2 shown]
	ds_write_b128 v214, v[230:233] offset:768
	ds_write_b128 v214, v[132:135] offset:1536
	;; [unrolled: 1-line block ×7, first 2 shown]
	v_fma_f64 v[174:175], v[222:223], v[178:179], -v[248:249]
	v_fmac_f64_e32 v[176:177], v[224:225], v[178:179]
	v_fma_f64 v[178:179], v[226:227], v[182:183], -v[250:251]
	v_fmac_f64_e32 v[180:181], v[228:229], v[182:183]
	ds_read_b128 v[132:135], v214 offset:8448
	ds_write_b128 v214, v[170:173] offset:6144
	ds_write_b128 v214, v[174:177] offset:6912
	ds_write_b128 v214, v[178:181] offset:7680
	ds_read_b128 v[136:139], v214 offset:9216
	s_waitcnt vmcnt(1) lgkmcnt(4)
	v_mul_f64 v[140:141], v[134:135], v[158:159]
	v_mul_f64 v[142:143], v[132:133], v[158:159]
	v_fma_f64 v[140:141], v[132:133], v[156:157], -v[140:141]
	v_fmac_f64_e32 v[142:143], v[134:135], v[156:157]
	s_waitcnt vmcnt(0) lgkmcnt(0)
	v_mul_f64 v[132:133], v[138:139], v[188:189]
	v_mul_f64 v[134:135], v[136:137], v[188:189]
	v_fma_f64 v[132:133], v[136:137], v[186:187], -v[132:133]
	v_fmac_f64_e32 v[134:135], v[138:139], v[186:187]
	ds_write_b128 v214, v[140:143] offset:8448
	ds_write_b128 v214, v[132:135] offset:9216
.LBB0_9:
	s_or_b64 exec, exec, s[2:3]
	s_waitcnt lgkmcnt(0)
	; wave barrier
	s_waitcnt lgkmcnt(0)
	s_and_saveexec_b64 s[0:1], vcc
	s_cbranch_execz .LBB0_11
; %bb.10:
	ds_read_b128 v[84:87], v161
	ds_read_b128 v[88:91], v161 offset:768
	ds_read_b128 v[92:95], v161 offset:1536
	;; [unrolled: 1-line block ×12, first 2 shown]
.LBB0_11:
	s_or_b64 exec, exec, s[0:1]
	s_waitcnt lgkmcnt(0)
	; wave barrier
	s_waitcnt lgkmcnt(0)
	s_and_saveexec_b64 s[0:1], vcc
	s_cbranch_execz .LBB0_13
; %bb.12:
	s_mov_b32 s28, 0x4bc48dbf
	v_add_f64 v[200:201], v[88:89], -v[0:1]
	s_mov_b32 s29, 0xbfcea1e5
	s_mov_b32 s24, 0x93053d00
	;; [unrolled: 1-line block ×3, first 2 shown]
	v_add_f64 v[198:199], v[92:93], -v[128:129]
	s_mov_b32 s27, 0x3fddbe06
	s_mov_b32 s26, 0x4267c47c
	;; [unrolled: 1-line block ×3, first 2 shown]
	v_mul_f64 v[152:153], v[200:201], s[28:29]
	v_add_f64 v[182:183], v[2:3], v[90:91]
	s_mov_b32 s25, 0xbfef11f4
	v_add_f64 v[212:213], v[90:91], -v[2:3]
	s_mov_b32 s38, 0x42a4c3d2
	v_add_f64 v[188:189], v[96:97], -v[124:125]
	s_mov_b32 s23, 0xbfe5384d
	s_mov_b32 s18, 0xd0032e0c
	v_mul_f64 v[148:149], v[198:199], s[26:27]
	v_add_f64 v[178:179], v[130:131], v[94:95]
	s_mov_b32 s21, 0x3fec55a7
	v_fma_f64 v[154:155], s[24:25], v[182:183], v[152:153]
	v_add_f64 v[210:211], v[94:95], -v[130:131]
	v_add_f64 v[196:197], v[0:1], v[88:89]
	v_mul_f64 v[224:225], v[212:213], s[28:29]
	s_mov_b32 s16, 0x2ef20147
	v_add_f64 v[180:181], v[100:101], -v[120:121]
	s_mov_b32 s39, 0x3fea55e2
	s_mov_b32 s14, 0x1ea71119
	v_mul_f64 v[144:145], v[188:189], s[22:23]
	v_add_f64 v[174:175], v[98:99], v[126:127]
	s_mov_b32 s19, 0xbfe7f3cc
	v_fma_f64 v[150:151], s[20:21], v[178:179], v[148:149]
	v_add_f64 v[154:155], v[86:87], v[154:155]
	v_add_f64 v[208:209], v[98:99], -v[126:127]
	v_add_f64 v[194:195], v[128:129], v[92:93]
	v_mul_f64 v[220:221], v[210:211], s[26:27]
	v_fma_f64 v[226:227], v[196:197], s[24:25], -v[224:225]
	s_mov_b32 s30, 0x66966769
	v_add_f64 v[176:177], v[104:105], -v[116:117]
	s_mov_b32 s17, 0xbfedeba7
	s_mov_b32 s10, 0xb2365da1
	v_mul_f64 v[140:141], v[180:181], s[38:39]
	v_add_f64 v[170:171], v[102:103], v[122:123]
	s_mov_b32 s15, 0x3fe22d96
	v_fma_f64 v[146:147], s[18:19], v[174:175], v[144:145]
	v_add_f64 v[150:151], v[150:151], v[154:155]
	v_add_f64 v[206:207], v[102:103], -v[122:123]
	v_add_f64 v[192:193], v[96:97], v[124:125]
	v_mul_f64 v[158:159], v[208:209], s[22:23]
	v_fma_f64 v[222:223], v[194:195], s[20:21], -v[220:221]
	v_add_f64 v[226:227], v[84:85], v[226:227]
	v_add_f64 v[172:173], v[108:109], -v[112:113]
	s_mov_b32 s31, 0x3fefc445
	s_mov_b32 s2, 0xebaa3ed8
	v_mul_f64 v[138:139], v[176:177], s[16:17]
	v_add_f64 v[168:169], v[118:119], v[106:107]
	s_mov_b32 s11, 0xbfd6b1d8
	v_fma_f64 v[142:143], s[14:15], v[170:171], v[140:141]
	v_add_f64 v[146:147], v[146:147], v[150:151]
	v_add_f64 v[204:205], v[106:107], -v[118:119]
	v_add_f64 v[190:191], v[100:101], v[120:121]
	v_mul_f64 v[154:155], v[206:207], s[38:39]
	v_fma_f64 v[218:219], v[192:193], s[18:19], -v[158:159]
	v_add_f64 v[222:223], v[222:223], v[226:227]
	v_mul_f64 v[136:137], v[172:173], s[30:31]
	v_add_f64 v[166:167], v[114:115], v[110:111]
	s_mov_b32 s3, 0x3fbedb7d
	v_fma_f64 v[134:135], s[10:11], v[168:169], v[138:139]
	v_add_f64 v[142:143], v[142:143], v[146:147]
	v_add_f64 v[202:203], v[110:111], -v[114:115]
	v_add_f64 v[186:187], v[116:117], v[104:105]
	v_mul_f64 v[146:147], v[204:205], s[16:17]
	v_fma_f64 v[156:157], v[190:191], s[14:15], -v[154:155]
	v_add_f64 v[218:219], v[218:219], v[222:223]
	v_fma_f64 v[132:133], s[2:3], v[166:167], v[136:137]
	v_add_f64 v[134:135], v[134:135], v[142:143]
	v_add_f64 v[184:185], v[112:113], v[108:109]
	v_mul_f64 v[142:143], v[202:203], s[30:31]
	v_fma_f64 v[150:151], v[186:187], s[10:11], -v[146:147]
	v_add_f64 v[156:157], v[156:157], v[218:219]
	v_add_f64 v[134:135], v[132:133], v[134:135]
	v_fma_f64 v[132:133], v[184:185], s[2:3], -v[142:143]
	v_add_f64 v[150:151], v[150:151], v[156:157]
	v_add_f64 v[132:133], v[132:133], v[150:151]
	v_fma_f64 v[150:151], v[182:183], s[24:25], -v[152:153]
	v_fma_f64 v[148:149], v[178:179], s[20:21], -v[148:149]
	v_add_f64 v[150:151], v[86:87], v[150:151]
	v_fma_f64 v[144:145], v[174:175], s[18:19], -v[144:145]
	v_add_f64 v[148:149], v[148:149], v[150:151]
	;; [unrolled: 2-line block ×5, first 2 shown]
	v_fmac_f64_e32 v[224:225], s[24:25], v[196:197]
	v_add_f64 v[138:139], v[136:137], v[138:139]
	v_fmac_f64_e32 v[220:221], s[20:21], v[194:195]
	v_add_f64 v[136:137], v[84:85], v[224:225]
	v_mul_f64 v[218:219], v[200:201], s[22:23]
	v_fmac_f64_e32 v[158:159], s[18:19], v[192:193]
	v_add_f64 v[136:137], v[220:221], v[136:137]
	s_mov_b32 s35, 0xbfea55e2
	s_mov_b32 s34, s38
	v_mul_f64 v[156:157], v[198:199], s[30:31]
	v_fma_f64 v[220:221], s[18:19], v[182:183], v[218:219]
	v_mul_f64 v[232:233], v[212:213], s[22:23]
	v_fmac_f64_e32 v[154:155], s[14:15], v[190:191]
	v_add_f64 v[136:137], v[158:159], v[136:137]
	s_mov_b32 s43, 0x3fcea1e5
	s_mov_b32 s42, s28
	v_mul_f64 v[152:153], v[188:189], s[34:35]
	v_fma_f64 v[158:159], s[2:3], v[178:179], v[156:157]
	v_add_f64 v[220:221], v[86:87], v[220:221]
	v_mul_f64 v[228:229], v[210:211], s[30:31]
	v_fma_f64 v[234:235], v[196:197], s[18:19], -v[232:233]
	v_fmac_f64_e32 v[146:147], s[10:11], v[186:187]
	v_add_f64 v[136:137], v[154:155], v[136:137]
	v_mul_f64 v[148:149], v[180:181], s[42:43]
	v_fma_f64 v[154:155], s[14:15], v[174:175], v[152:153]
	v_add_f64 v[158:159], v[158:159], v[220:221]
	v_mul_f64 v[224:225], v[208:209], s[34:35]
	v_fma_f64 v[230:231], v[194:195], s[2:3], -v[228:229]
	v_add_f64 v[234:235], v[84:85], v[234:235]
	v_fmac_f64_e32 v[142:143], s[2:3], v[184:185]
	v_add_f64 v[136:137], v[146:147], v[136:137]
	v_mul_f64 v[146:147], v[176:177], s[26:27]
	v_fma_f64 v[150:151], s[24:25], v[170:171], v[148:149]
	v_add_f64 v[154:155], v[154:155], v[158:159]
	v_mul_f64 v[220:221], v[206:207], s[42:43]
	v_fma_f64 v[226:227], v[192:193], s[14:15], -v[224:225]
	v_add_f64 v[230:231], v[230:231], v[234:235]
	v_add_f64 v[136:137], v[142:143], v[136:137]
	v_mul_f64 v[144:145], v[172:173], s[16:17]
	v_fma_f64 v[142:143], s[20:21], v[168:169], v[146:147]
	v_add_f64 v[150:151], v[150:151], v[154:155]
	v_mul_f64 v[154:155], v[204:205], s[26:27]
	v_fma_f64 v[222:223], v[190:191], s[24:25], -v[220:221]
	v_add_f64 v[226:227], v[226:227], v[230:231]
	v_fma_f64 v[140:141], s[10:11], v[166:167], v[144:145]
	v_add_f64 v[142:143], v[142:143], v[150:151]
	v_mul_f64 v[150:151], v[202:203], s[16:17]
	v_fma_f64 v[158:159], v[186:187], s[20:21], -v[154:155]
	v_add_f64 v[222:223], v[222:223], v[226:227]
	v_add_f64 v[142:143], v[140:141], v[142:143]
	v_fma_f64 v[140:141], v[184:185], s[10:11], -v[150:151]
	v_add_f64 v[158:159], v[158:159], v[222:223]
	v_add_f64 v[140:141], v[140:141], v[158:159]
	v_fma_f64 v[158:159], v[182:183], s[18:19], -v[218:219]
	v_fma_f64 v[156:157], v[178:179], s[2:3], -v[156:157]
	v_add_f64 v[158:159], v[86:87], v[158:159]
	v_fma_f64 v[152:153], v[174:175], s[14:15], -v[152:153]
	v_add_f64 v[156:157], v[156:157], v[158:159]
	;; [unrolled: 2-line block ×5, first 2 shown]
	v_fmac_f64_e32 v[232:233], s[18:19], v[196:197]
	v_add_f64 v[146:147], v[144:145], v[146:147]
	v_fmac_f64_e32 v[228:229], s[2:3], v[194:195]
	v_add_f64 v[144:145], v[84:85], v[232:233]
	s_mov_b32 s41, 0x3fe5384d
	s_mov_b32 s40, s22
	v_mul_f64 v[226:227], v[200:201], s[16:17]
	v_fmac_f64_e32 v[224:225], s[14:15], v[192:193]
	v_add_f64 v[144:145], v[228:229], v[144:145]
	v_mul_f64 v[222:223], v[198:199], s[40:41]
	v_fma_f64 v[228:229], s[10:11], v[182:183], v[226:227]
	v_mul_f64 v[240:241], v[212:213], s[16:17]
	v_fmac_f64_e32 v[220:221], s[24:25], v[190:191]
	v_add_f64 v[144:145], v[224:225], v[144:145]
	s_mov_b32 s37, 0xbfefc445
	s_mov_b32 s36, s30
	v_mul_f64 v[218:219], v[188:189], s[26:27]
	v_fma_f64 v[224:225], s[18:19], v[178:179], v[222:223]
	v_add_f64 v[228:229], v[86:87], v[228:229]
	v_mul_f64 v[236:237], v[210:211], s[40:41]
	v_fma_f64 v[242:243], v[196:197], s[10:11], -v[240:241]
	v_fmac_f64_e32 v[154:155], s[20:21], v[186:187]
	v_add_f64 v[144:145], v[220:221], v[144:145]
	v_mul_f64 v[156:157], v[180:181], s[36:37]
	v_fma_f64 v[220:221], s[20:21], v[174:175], v[218:219]
	v_add_f64 v[224:225], v[224:225], v[228:229]
	v_mul_f64 v[232:233], v[208:209], s[26:27]
	v_fma_f64 v[238:239], v[194:195], s[18:19], -v[236:237]
	v_add_f64 v[242:243], v[84:85], v[242:243]
	v_fmac_f64_e32 v[150:151], s[10:11], v[184:185]
	v_add_f64 v[144:145], v[154:155], v[144:145]
	v_mul_f64 v[154:155], v[176:177], s[42:43]
	v_fma_f64 v[158:159], s[2:3], v[170:171], v[156:157]
	v_add_f64 v[220:221], v[220:221], v[224:225]
	v_mul_f64 v[228:229], v[206:207], s[36:37]
	v_fma_f64 v[234:235], v[192:193], s[20:21], -v[232:233]
	v_add_f64 v[238:239], v[238:239], v[242:243]
	v_add_f64 v[144:145], v[150:151], v[144:145]
	v_mul_f64 v[152:153], v[172:173], s[38:39]
	v_fma_f64 v[150:151], s[24:25], v[168:169], v[154:155]
	v_add_f64 v[158:159], v[158:159], v[220:221]
	v_mul_f64 v[220:221], v[204:205], s[42:43]
	v_fma_f64 v[230:231], v[190:191], s[2:3], -v[228:229]
	v_add_f64 v[234:235], v[234:235], v[238:239]
	v_fma_f64 v[148:149], s[14:15], v[166:167], v[152:153]
	v_add_f64 v[150:151], v[150:151], v[158:159]
	v_mul_f64 v[158:159], v[202:203], s[38:39]
	v_fma_f64 v[224:225], v[186:187], s[24:25], -v[220:221]
	v_add_f64 v[230:231], v[230:231], v[234:235]
	v_add_f64 v[150:151], v[148:149], v[150:151]
	v_fma_f64 v[148:149], v[184:185], s[14:15], -v[158:159]
	v_add_f64 v[224:225], v[224:225], v[230:231]
	v_add_f64 v[148:149], v[148:149], v[224:225]
	v_fma_f64 v[224:225], v[182:183], s[10:11], -v[226:227]
	v_fma_f64 v[222:223], v[178:179], s[18:19], -v[222:223]
	v_add_f64 v[224:225], v[86:87], v[224:225]
	v_fma_f64 v[218:219], v[174:175], s[20:21], -v[218:219]
	v_add_f64 v[222:223], v[222:223], v[224:225]
	;; [unrolled: 2-line block ×5, first 2 shown]
	v_fmac_f64_e32 v[240:241], s[10:11], v[196:197]
	v_add_f64 v[154:155], v[152:153], v[154:155]
	v_fmac_f64_e32 v[236:237], s[18:19], v[194:195]
	v_add_f64 v[152:153], v[84:85], v[240:241]
	v_mul_f64 v[234:235], v[200:201], s[36:37]
	v_fmac_f64_e32 v[232:233], s[20:21], v[192:193]
	v_add_f64 v[152:153], v[236:237], v[152:153]
	s_mov_b32 s39, 0x3fedeba7
	s_mov_b32 s38, s16
	v_mul_f64 v[230:231], v[198:199], s[28:29]
	v_fma_f64 v[236:237], s[2:3], v[182:183], v[234:235]
	v_mul_f64 v[248:249], v[212:213], s[36:37]
	v_fmac_f64_e32 v[228:229], s[2:3], v[190:191]
	v_add_f64 v[152:153], v[232:233], v[152:153]
	v_mul_f64 v[226:227], v[188:189], s[38:39]
	v_fma_f64 v[232:233], s[24:25], v[178:179], v[230:231]
	v_add_f64 v[236:237], v[86:87], v[236:237]
	v_mul_f64 v[244:245], v[210:211], s[28:29]
	v_fma_f64 v[250:251], v[196:197], s[2:3], -v[248:249]
	v_fmac_f64_e32 v[220:221], s[24:25], v[186:187]
	v_add_f64 v[152:153], v[228:229], v[152:153]
	v_mul_f64 v[222:223], v[180:181], s[26:27]
	v_fma_f64 v[228:229], s[10:11], v[174:175], v[226:227]
	v_add_f64 v[232:233], v[232:233], v[236:237]
	v_mul_f64 v[240:241], v[208:209], s[38:39]
	v_fma_f64 v[246:247], v[194:195], s[24:25], -v[244:245]
	v_add_f64 v[250:251], v[84:85], v[250:251]
	v_fmac_f64_e32 v[158:159], s[14:15], v[184:185]
	v_add_f64 v[152:153], v[220:221], v[152:153]
	v_mul_f64 v[220:221], v[176:177], s[34:35]
	v_fma_f64 v[224:225], s[20:21], v[170:171], v[222:223]
	v_add_f64 v[228:229], v[228:229], v[232:233]
	v_mul_f64 v[236:237], v[206:207], s[26:27]
	v_fma_f64 v[242:243], v[192:193], s[10:11], -v[240:241]
	v_add_f64 v[246:247], v[246:247], v[250:251]
	v_add_f64 v[152:153], v[158:159], v[152:153]
	v_mul_f64 v[218:219], v[172:173], s[22:23]
	v_fma_f64 v[158:159], s[14:15], v[168:169], v[220:221]
	v_add_f64 v[224:225], v[224:225], v[228:229]
	v_mul_f64 v[228:229], v[204:205], s[34:35]
	v_fma_f64 v[238:239], v[190:191], s[20:21], -v[236:237]
	v_add_f64 v[242:243], v[242:243], v[246:247]
	v_fma_f64 v[156:157], s[18:19], v[166:167], v[218:219]
	v_add_f64 v[158:159], v[158:159], v[224:225]
	v_mul_f64 v[224:225], v[202:203], s[22:23]
	v_fma_f64 v[232:233], v[186:187], s[14:15], -v[228:229]
	v_add_f64 v[238:239], v[238:239], v[242:243]
	v_add_f64 v[158:159], v[156:157], v[158:159]
	v_fma_f64 v[156:157], v[184:185], s[18:19], -v[224:225]
	v_add_f64 v[232:233], v[232:233], v[238:239]
	v_add_f64 v[156:157], v[156:157], v[232:233]
	v_fma_f64 v[232:233], v[182:183], s[2:3], -v[234:235]
	v_fma_f64 v[230:231], v[178:179], s[24:25], -v[230:231]
	v_add_f64 v[232:233], v[86:87], v[232:233]
	v_fma_f64 v[226:227], v[174:175], s[10:11], -v[226:227]
	v_add_f64 v[230:231], v[230:231], v[232:233]
	;; [unrolled: 2-line block ×5, first 2 shown]
	v_fmac_f64_e32 v[248:249], s[2:3], v[196:197]
	v_add_f64 v[220:221], v[218:219], v[220:221]
	v_fmac_f64_e32 v[244:245], s[24:25], v[194:195]
	v_add_f64 v[218:219], v[84:85], v[248:249]
	v_mul_f64 v[242:243], v[200:201], s[34:35]
	v_fmac_f64_e32 v[240:241], s[10:11], v[192:193]
	v_add_f64 v[218:219], v[244:245], v[218:219]
	v_mul_f64 v[238:239], v[198:199], s[16:17]
	v_fma_f64 v[244:245], s[14:15], v[182:183], v[242:243]
	v_mov_b32_e32 v165, v163
	v_mul_f64 v[162:163], v[212:213], s[34:35]
	v_fmac_f64_e32 v[236:237], s[20:21], v[190:191]
	v_add_f64 v[218:219], v[240:241], v[218:219]
	v_mul_f64 v[234:235], v[188:189], s[28:29]
	v_fma_f64 v[240:241], s[10:11], v[178:179], v[238:239]
	v_add_f64 v[244:245], v[86:87], v[244:245]
	v_accvgpr_write_b32 a2, v252
	v_mul_f64 v[252:253], v[210:211], s[16:17]
	v_accvgpr_write_b32 a0, v216
	v_accvgpr_write_b32 a1, v217
	v_fma_f64 v[216:217], v[196:197], s[14:15], -v[162:163]
	v_fmac_f64_e32 v[228:229], s[14:15], v[186:187]
	v_add_f64 v[218:219], v[236:237], v[218:219]
	v_mul_f64 v[230:231], v[180:181], s[40:41]
	v_fma_f64 v[236:237], s[24:25], v[174:175], v[234:235]
	v_add_f64 v[240:241], v[240:241], v[244:245]
	v_mul_f64 v[248:249], v[208:209], s[28:29]
	v_fma_f64 v[254:255], v[194:195], s[10:11], -v[252:253]
	v_add_f64 v[216:217], v[84:85], v[216:217]
	v_fmac_f64_e32 v[224:225], s[18:19], v[184:185]
	v_add_f64 v[218:219], v[228:229], v[218:219]
	v_mul_f64 v[228:229], v[176:177], s[30:31]
	v_fma_f64 v[232:233], s[18:19], v[170:171], v[230:231]
	v_add_f64 v[236:237], v[236:237], v[240:241]
	v_mul_f64 v[244:245], v[206:207], s[40:41]
	v_fma_f64 v[250:251], v[192:193], s[24:25], -v[248:249]
	v_add_f64 v[216:217], v[254:255], v[216:217]
	v_add_f64 v[218:219], v[224:225], v[218:219]
	v_mul_f64 v[226:227], v[172:173], s[26:27]
	v_fma_f64 v[224:225], s[2:3], v[168:169], v[228:229]
	v_add_f64 v[232:233], v[232:233], v[236:237]
	v_mul_f64 v[236:237], v[204:205], s[30:31]
	v_fma_f64 v[246:247], v[190:191], s[18:19], -v[244:245]
	v_add_f64 v[216:217], v[250:251], v[216:217]
	v_fma_f64 v[222:223], s[20:21], v[166:167], v[226:227]
	v_add_f64 v[224:225], v[224:225], v[232:233]
	v_mul_f64 v[232:233], v[202:203], s[26:27]
	v_fma_f64 v[240:241], v[186:187], s[2:3], -v[236:237]
	v_add_f64 v[216:217], v[246:247], v[216:217]
	v_add_f64 v[224:225], v[222:223], v[224:225]
	v_fma_f64 v[222:223], v[184:185], s[20:21], -v[232:233]
	v_add_f64 v[216:217], v[240:241], v[216:217]
	v_add_f64 v[222:223], v[222:223], v[216:217]
	v_fma_f64 v[216:217], v[166:167], s[20:21], -v[226:227]
	v_fma_f64 v[226:227], v[168:169], s[2:3], -v[228:229]
	;; [unrolled: 1-line block ×6, first 2 shown]
	v_fmac_f64_e32 v[162:163], s[14:15], v[196:197]
	v_add_f64 v[238:239], v[86:87], v[238:239]
	v_fmac_f64_e32 v[252:253], s[10:11], v[194:195]
	v_add_f64 v[162:163], v[84:85], v[162:163]
	v_add_f64 v[234:235], v[234:235], v[238:239]
	v_fmac_f64_e32 v[248:249], s[24:25], v[192:193]
	v_add_f64 v[162:163], v[252:253], v[162:163]
	;; [unrolled: 3-line block ×5, first 2 shown]
	s_mov_b32 s27, 0xbfddbe06
	v_add_f64 v[228:229], v[216:217], v[226:227]
	v_add_f64 v[226:227], v[232:233], v[162:163]
	v_mul_f64 v[162:163], v[172:173], s[28:29]
	v_mul_f64 v[176:177], v[176:177], s[22:23]
	;; [unrolled: 1-line block ×3, first 2 shown]
	v_fma_f64 v[172:173], s[24:25], v[166:167], v[162:163]
	v_fma_f64 v[216:217], s[18:19], v[168:169], v[176:177]
	v_mul_f64 v[180:181], v[180:181], s[16:17]
	v_mul_f64 v[188:189], v[188:189], s[36:37]
	;; [unrolled: 1-line block ×3, first 2 shown]
	v_fma_f64 v[162:163], v[166:167], s[24:25], -v[162:163]
	v_fma_f64 v[166:167], v[168:169], s[18:19], -v[176:177]
	;; [unrolled: 1-line block ×3, first 2 shown]
	v_fma_f64 v[230:231], s[10:11], v[170:171], v[180:181]
	v_fma_f64 v[232:233], s[2:3], v[174:175], v[188:189]
	v_fma_f64 v[168:169], v[170:171], s[10:11], -v[180:181]
	v_fma_f64 v[170:171], v[174:175], s[2:3], -v[188:189]
	;; [unrolled: 1-line block ×3, first 2 shown]
	v_add_f64 v[176:177], v[86:87], v[176:177]
	v_add_f64 v[174:175], v[174:175], v[176:177]
	;; [unrolled: 1-line block ×3, first 2 shown]
	v_mul_f64 v[212:213], v[212:213], s[26:27]
	v_add_f64 v[168:169], v[168:169], v[170:171]
	v_fma_f64 v[200:201], s[20:21], v[182:183], v[236:237]
	v_fma_f64 v[238:239], v[196:197], s[20:21], -v[212:213]
	v_add_f64 v[166:167], v[166:167], v[168:169]
	v_fmac_f64_e32 v[212:213], s[20:21], v[196:197]
	v_add_f64 v[200:201], v[86:87], v[200:201]
	v_add_f64 v[238:239], v[84:85], v[238:239]
	;; [unrolled: 1-line block ×12, first 2 shown]
	v_fma_f64 v[198:199], s[14:15], v[178:179], v[234:235]
	v_add_f64 v[86:87], v[106:107], v[86:87]
	v_add_f64 v[84:85], v[104:105], v[84:85]
	;; [unrolled: 1-line block ×6, first 2 shown]
	v_mul_f64 v[210:211], v[210:211], s[34:35]
	v_add_f64 v[86:87], v[114:115], v[86:87]
	v_add_f64 v[84:85], v[112:113], v[84:85]
	;; [unrolled: 1-line block ×3, first 2 shown]
	v_mul_f64 v[208:209], v[208:209], s[36:37]
	v_fma_f64 v[232:233], v[194:195], s[14:15], -v[210:211]
	v_fmac_f64_e32 v[210:211], s[14:15], v[194:195]
	v_add_f64 v[86:87], v[118:119], v[86:87]
	v_add_f64 v[84:85], v[116:117], v[84:85]
	;; [unrolled: 1-line block ×3, first 2 shown]
	v_mul_f64 v[206:207], v[206:207], s[16:17]
	v_fma_f64 v[230:231], v[192:193], s[2:3], -v[208:209]
	v_add_f64 v[232:233], v[232:233], v[238:239]
	v_fmac_f64_e32 v[208:209], s[2:3], v[192:193]
	v_add_f64 v[162:163], v[210:211], v[162:163]
	v_add_f64 v[86:87], v[122:123], v[86:87]
	;; [unrolled: 1-line block ×4, first 2 shown]
	v_mul_f64 v[172:173], v[202:203], s[28:29]
	v_mul_f64 v[202:203], v[204:205], s[22:23]
	v_fma_f64 v[216:217], v[190:191], s[10:11], -v[206:207]
	v_add_f64 v[230:231], v[230:231], v[232:233]
	v_fmac_f64_e32 v[206:207], s[10:11], v[190:191]
	v_add_f64 v[162:163], v[208:209], v[162:163]
	v_add_f64 v[86:87], v[126:127], v[86:87]
	v_add_f64 v[84:85], v[124:125], v[84:85]
	v_fma_f64 v[204:205], v[186:187], s[18:19], -v[202:203]
	v_add_f64 v[216:217], v[216:217], v[230:231]
	v_fmac_f64_e32 v[202:203], s[18:19], v[186:187]
	v_add_f64 v[162:163], v[206:207], v[162:163]
	v_add_f64 v[86:87], v[130:131], v[86:87]
	;; [unrolled: 1-line block ×3, first 2 shown]
	v_accvgpr_read_b32 v252, a2
	v_fma_f64 v[198:199], v[184:185], s[24:25], -v[172:173]
	v_add_f64 v[204:205], v[204:205], v[216:217]
	v_accvgpr_read_b32 v217, a1
	v_accvgpr_read_b32 v216, a0
	v_fmac_f64_e32 v[172:173], s[24:25], v[184:185]
	v_add_f64 v[162:163], v[202:203], v[162:163]
	v_add_f64 v[2:3], v[2:3], v[86:87]
	;; [unrolled: 1-line block ×3, first 2 shown]
	v_lshlrev_b32_e32 v84, 4, v165
	v_add_f64 v[198:199], v[198:199], v[204:205]
	v_add_f64 v[166:167], v[172:173], v[162:163]
	ds_write_b128 v84, v[0:3]
	ds_write_b128 v84, v[166:169] offset:16
	ds_write_b128 v84, v[226:229] offset:32
	;; [unrolled: 1-line block ×12, first 2 shown]
.LBB0_13:
	s_or_b64 exec, exec, s[0:1]
	s_waitcnt lgkmcnt(0)
	; wave barrier
	s_waitcnt lgkmcnt(0)
	ds_read_b128 v[0:3], v161
	ds_read_b128 v[84:87], v161 offset:832
	ds_read_b128 v[88:91], v161 offset:4992
	;; [unrolled: 1-line block ×11, first 2 shown]
	s_waitcnt lgkmcnt(7)
	v_mul_f64 v[128:129], v[10:11], v[98:99]
	v_mul_f64 v[10:11], v[10:11], v[96:97]
	v_fmac_f64_e32 v[128:129], v[8:9], v[96:97]
	v_fma_f64 v[8:9], v[8:9], v[98:99], -v[10:11]
	v_mul_f64 v[10:11], v[6:7], v[90:91]
	v_mul_f64 v[6:7], v[6:7], v[88:89]
	v_fmac_f64_e32 v[10:11], v[4:5], v[88:89]
	v_fma_f64 v[4:5], v[4:5], v[90:91], -v[6:7]
	s_waitcnt lgkmcnt(3)
	v_mul_f64 v[6:7], v[22:23], v[114:115]
	v_mul_f64 v[22:23], v[22:23], v[112:113]
	v_fmac_f64_e32 v[6:7], v[20:21], v[112:113]
	v_fma_f64 v[20:21], v[20:21], v[114:115], -v[22:23]
	v_mul_f64 v[22:23], v[26:27], v[106:107]
	v_mul_f64 v[26:27], v[26:27], v[104:105]
	v_fmac_f64_e32 v[22:23], v[24:25], v[104:105]
	v_fma_f64 v[24:25], v[24:25], v[106:107], -v[26:27]
	;; [unrolled: 4-line block ×3, first 2 shown]
	s_waitcnt lgkmcnt(1)
	v_mul_f64 v[18:19], v[14:15], v[122:123]
	v_mul_f64 v[14:15], v[14:15], v[120:121]
	v_fmac_f64_e32 v[18:19], v[12:13], v[120:121]
	v_fma_f64 v[88:89], v[12:13], v[122:123], -v[14:15]
	v_mul_f64 v[90:91], v[38:39], v[110:111]
	v_mul_f64 v[12:13], v[38:39], v[108:109]
	v_fmac_f64_e32 v[90:91], v[36:37], v[108:109]
	v_fma_f64 v[36:37], v[36:37], v[110:111], -v[12:13]
	;; [unrolled: 4-line block ×3, first 2 shown]
	s_waitcnt lgkmcnt(0)
	v_mul_f64 v[12:13], v[30:31], v[124:125]
	v_add_f64 v[14:15], v[2:3], -v[4:5]
	v_add_f64 v[20:21], v[8:9], -v[20:21]
	v_mul_f64 v[34:35], v[30:31], v[126:127]
	v_fma_f64 v[92:93], v[28:29], v[126:127], -v[12:13]
	v_add_f64 v[12:13], v[0:1], -v[10:11]
	v_fma_f64 v[10:11], v[2:3], 2.0, -v[14:15]
	v_fma_f64 v[2:3], v[8:9], 2.0, -v[20:21]
	v_fmac_f64_e32 v[34:35], v[28:29], v[124:125]
	v_add_f64 v[28:29], v[128:129], -v[6:7]
	v_add_f64 v[2:3], v[10:11], -v[2:3]
	;; [unrolled: 1-line block ×3, first 2 shown]
	v_fma_f64 v[4:5], v[0:1], 2.0, -v[12:13]
	v_fma_f64 v[0:1], v[128:129], 2.0, -v[28:29]
	;; [unrolled: 1-line block ×3, first 2 shown]
	v_add_f64 v[10:11], v[14:15], -v[28:29]
	v_add_f64 v[28:29], v[84:85], -v[26:27]
	v_fma_f64 v[26:27], v[86:87], 2.0, -v[30:31]
	v_add_f64 v[86:87], v[24:25], -v[88:89]
	v_add_f64 v[8:9], v[12:13], v[20:21]
	v_fma_f64 v[20:21], v[84:85], 2.0, -v[28:29]
	v_add_f64 v[84:85], v[22:23], -v[18:19]
	v_fma_f64 v[18:19], v[24:25], 2.0, -v[86:87]
	v_add_f64 v[18:19], v[26:27], -v[18:19]
	v_add_f64 v[24:25], v[28:29], v[86:87]
	v_add_f64 v[88:89], v[100:101], -v[38:39]
	v_add_f64 v[94:95], v[102:103], -v[32:33]
	;; [unrolled: 1-line block ×4, first 2 shown]
	v_fma_f64 v[16:17], v[22:23], 2.0, -v[84:85]
	v_fma_f64 v[22:23], v[26:27], 2.0, -v[18:19]
	v_add_f64 v[26:27], v[30:31], -v[84:85]
	v_fma_f64 v[38:39], v[100:101], 2.0, -v[88:89]
	v_fma_f64 v[84:85], v[102:103], 2.0, -v[94:95]
	;; [unrolled: 1-line block ×4, first 2 shown]
	v_add_f64 v[32:33], v[38:39], -v[32:33]
	v_add_f64 v[34:35], v[84:85], -v[34:35]
	;; [unrolled: 1-line block ×4, first 2 shown]
	v_fma_f64 v[36:37], v[38:39], 2.0, -v[32:33]
	v_fma_f64 v[38:39], v[84:85], 2.0, -v[34:35]
	v_add_f64 v[84:85], v[88:89], v[92:93]
	v_add_f64 v[86:87], v[94:95], -v[86:87]
	v_fma_f64 v[4:5], v[4:5], 2.0, -v[0:1]
	v_fma_f64 v[12:13], v[12:13], 2.0, -v[8:9]
	;; [unrolled: 1-line block ×8, first 2 shown]
	s_waitcnt lgkmcnt(0)
	; wave barrier
	ds_write_b128 v217, v[4:7]
	ds_write_b128 v217, v[12:15] offset:208
	ds_write_b128 v217, v[0:3] offset:416
	ds_write_b128 v217, v[8:11] offset:624
	ds_write_b128 v160, v[20:23]
	ds_write_b128 v160, v[28:31] offset:208
	ds_write_b128 v160, v[16:19] offset:416
	ds_write_b128 v160, v[24:27] offset:624
	;; [unrolled: 4-line block ×3, first 2 shown]
	s_waitcnt lgkmcnt(0)
	; wave barrier
	s_waitcnt lgkmcnt(0)
	ds_read_b128 v[4:7], v161
	ds_read_b128 v[0:3], v161 offset:832
	ds_read_b128 v[8:11], v161 offset:1664
	;; [unrolled: 1-line block ×11, first 2 shown]
	s_waitcnt lgkmcnt(9)
	v_mul_f64 v[92:93], v[54:55], v[10:11]
	v_fmac_f64_e32 v[92:93], v[52:53], v[8:9]
	v_mul_f64 v[8:9], v[54:55], v[8:9]
	v_fma_f64 v[94:95], v[52:53], v[10:11], -v[8:9]
	s_waitcnt lgkmcnt(7)
	v_mul_f64 v[8:9], v[50:51], v[18:19]
	v_fmac_f64_e32 v[8:9], v[48:49], v[16:17]
	v_mul_f64 v[10:11], v[50:51], v[16:17]
	s_waitcnt lgkmcnt(5)
	v_mul_f64 v[16:17], v[46:47], v[26:27]
	v_fma_f64 v[10:11], v[48:49], v[18:19], -v[10:11]
	v_fmac_f64_e32 v[16:17], v[44:45], v[24:25]
	v_mul_f64 v[18:19], v[46:47], v[24:25]
	s_waitcnt lgkmcnt(3)
	v_mul_f64 v[24:25], v[42:43], v[34:35]
	v_fma_f64 v[18:19], v[44:45], v[26:27], -v[18:19]
	;; [unrolled: 5-line block ×3, first 2 shown]
	v_fmac_f64_e32 v[32:33], v[56:57], v[84:85]
	v_mul_f64 v[34:35], v[58:59], v[84:85]
	v_mul_f64 v[84:85], v[54:55], v[14:15]
	v_fmac_f64_e32 v[84:85], v[52:53], v[12:13]
	v_mul_f64 v[12:13], v[54:55], v[12:13]
	v_fma_f64 v[52:53], v[52:53], v[14:15], -v[12:13]
	v_mul_f64 v[54:55], v[50:51], v[22:23]
	v_mul_f64 v[12:13], v[50:51], v[20:21]
	v_fmac_f64_e32 v[54:55], v[48:49], v[20:21]
	v_fma_f64 v[48:49], v[48:49], v[22:23], -v[12:13]
	v_mul_f64 v[50:51], v[46:47], v[30:31]
	v_mul_f64 v[12:13], v[46:47], v[28:29]
	v_fmac_f64_e32 v[50:51], v[44:45], v[28:29]
	;; [unrolled: 4-line block ×3, first 2 shown]
	v_fma_f64 v[36:37], v[40:41], v[38:39], -v[12:13]
	s_waitcnt lgkmcnt(0)
	v_mul_f64 v[12:13], v[58:59], v[88:89]
	v_fma_f64 v[40:41], v[56:57], v[90:91], -v[12:13]
	v_add_f64 v[12:13], v[4:5], v[8:9]
	v_add_f64 v[20:21], v[12:13], v[24:25]
	;; [unrolled: 1-line block ×3, first 2 shown]
	s_mov_b32 s2, 0xe8584caa
	v_fmac_f64_e32 v[4:5], -0.5, v[12:13]
	v_add_f64 v[12:13], v[10:11], -v[26:27]
	s_mov_b32 s3, 0xbfebb67a
	s_mov_b32 s1, 0x3febb67a
	;; [unrolled: 1-line block ×3, first 2 shown]
	v_fma_f64 v[22:23], s[2:3], v[12:13], v[4:5]
	v_fmac_f64_e32 v[4:5], s[0:1], v[12:13]
	v_add_f64 v[12:13], v[6:7], v[10:11]
	v_add_f64 v[10:11], v[10:11], v[26:27]
	v_fmac_f64_e32 v[6:7], -0.5, v[10:11]
	v_add_f64 v[8:9], v[8:9], -v[24:25]
	v_add_f64 v[42:43], v[12:13], v[26:27]
	v_fma_f64 v[26:27], s[0:1], v[8:9], v[6:7]
	v_fmac_f64_e32 v[6:7], s[2:3], v[8:9]
	v_add_f64 v[8:9], v[92:93], v[16:17]
	v_fma_f64 v[34:35], v[56:57], v[86:87], -v[34:35]
	v_add_f64 v[24:25], v[8:9], v[32:33]
	v_add_f64 v[8:9], v[16:17], v[32:33]
	v_fmac_f64_e32 v[92:93], -0.5, v[8:9]
	v_add_f64 v[8:9], v[18:19], -v[34:35]
	v_fma_f64 v[14:15], s[2:3], v[8:9], v[92:93]
	v_fmac_f64_e32 v[92:93], s[0:1], v[8:9]
	v_add_f64 v[8:9], v[94:95], v[18:19]
	v_add_f64 v[44:45], v[8:9], v[34:35]
	;; [unrolled: 1-line block ×3, first 2 shown]
	v_fmac_f64_e32 v[94:95], -0.5, v[8:9]
	v_add_f64 v[8:9], v[16:17], -v[32:33]
	v_fma_f64 v[18:19], s[0:1], v[8:9], v[94:95]
	v_mul_f64 v[32:33], v[18:19], s[2:3]
	v_fmac_f64_e32 v[32:33], 0.5, v[14:15]
	v_fmac_f64_e32 v[94:95], s[2:3], v[8:9]
	v_add_f64 v[8:9], v[20:21], v[24:25]
	v_add_f64 v[12:13], v[22:23], v[32:33]
	v_add_f64 v[20:21], v[20:21], -v[24:25]
	v_add_f64 v[24:25], v[22:23], -v[32:33]
	v_add_f64 v[32:33], v[0:1], v[54:55]
	v_add_f64 v[10:11], v[42:43], v[44:45]
	v_add_f64 v[22:23], v[42:43], -v[44:45]
	v_add_f64 v[42:43], v[32:33], v[30:31]
	v_add_f64 v[32:33], v[54:55], v[30:31]
	v_mul_f64 v[46:47], v[18:19], 0.5
	v_fmac_f64_e32 v[0:1], -0.5, v[32:33]
	v_add_f64 v[32:33], v[48:49], -v[36:37]
	v_fmac_f64_e32 v[46:47], s[0:1], v[14:15]
	v_fma_f64 v[44:45], s[2:3], v[32:33], v[0:1]
	v_fmac_f64_e32 v[0:1], s[0:1], v[32:33]
	v_add_f64 v[32:33], v[2:3], v[48:49]
	v_add_f64 v[14:15], v[26:27], v[46:47]
	v_add_f64 v[26:27], v[26:27], -v[46:47]
	v_add_f64 v[46:47], v[32:33], v[36:37]
	v_add_f64 v[32:33], v[48:49], v[36:37]
	v_mul_f64 v[38:39], v[58:59], v[90:91]
	v_fmac_f64_e32 v[2:3], -0.5, v[32:33]
	v_add_f64 v[30:31], v[54:55], -v[30:31]
	v_fmac_f64_e32 v[38:39], v[56:57], v[88:89]
	v_fma_f64 v[48:49], s[0:1], v[30:31], v[2:3]
	v_fmac_f64_e32 v[2:3], s[2:3], v[30:31]
	v_add_f64 v[30:31], v[84:85], v[50:51]
	v_mul_f64 v[34:35], v[94:95], s[2:3]
	v_add_f64 v[54:55], v[30:31], v[38:39]
	v_add_f64 v[30:31], v[50:51], v[38:39]
	v_fmac_f64_e32 v[34:35], -0.5, v[92:93]
	v_fmac_f64_e32 v[84:85], -0.5, v[30:31]
	v_add_f64 v[30:31], v[28:29], -v[40:41]
	v_add_f64 v[16:17], v[4:5], v[34:35]
	v_add_f64 v[4:5], v[4:5], -v[34:35]
	v_fma_f64 v[34:35], s[2:3], v[30:31], v[84:85]
	v_fmac_f64_e32 v[84:85], s[0:1], v[30:31]
	v_add_f64 v[30:31], v[52:53], v[28:29]
	v_add_f64 v[28:29], v[28:29], v[40:41]
	v_fmac_f64_e32 v[52:53], -0.5, v[28:29]
	v_add_f64 v[28:29], v[50:51], -v[38:39]
	v_mul_f64 v[56:57], v[94:95], -0.5
	v_fma_f64 v[38:39], s[0:1], v[28:29], v[52:53]
	v_fmac_f64_e32 v[52:53], s[2:3], v[28:29]
	v_fmac_f64_e32 v[56:57], s[0:1], v[92:93]
	v_mul_f64 v[50:51], v[38:39], s[2:3]
	v_mul_f64 v[58:59], v[52:53], s[2:3]
	v_mul_f64 v[86:87], v[38:39], 0.5
	v_mul_f64 v[52:53], v[52:53], -0.5
	v_add_f64 v[18:19], v[6:7], v[56:57]
	v_add_f64 v[6:7], v[6:7], -v[56:57]
	v_add_f64 v[56:57], v[30:31], v[40:41]
	v_fmac_f64_e32 v[50:51], 0.5, v[34:35]
	v_fmac_f64_e32 v[58:59], -0.5, v[84:85]
	v_fmac_f64_e32 v[86:87], s[0:1], v[34:35]
	v_fmac_f64_e32 v[52:53], s[0:1], v[84:85]
	v_add_f64 v[28:29], v[42:43], v[54:55]
	v_add_f64 v[32:33], v[44:45], v[50:51]
	;; [unrolled: 1-line block ×6, first 2 shown]
	v_add_f64 v[40:41], v[42:43], -v[54:55]
	v_add_f64 v[44:45], v[44:45], -v[50:51]
	;; [unrolled: 1-line block ×6, first 2 shown]
	s_waitcnt lgkmcnt(0)
	; wave barrier
	ds_write_b128 v161, v[8:11]
	ds_write_b128 v161, v[12:15] offset:832
	ds_write_b128 v161, v[16:19] offset:1664
	;; [unrolled: 1-line block ×11, first 2 shown]
	s_waitcnt lgkmcnt(0)
	; wave barrier
	s_waitcnt lgkmcnt(0)
	ds_read_b128 v[0:3], v161
	ds_read_b128 v[4:7], v161 offset:832
	ds_read_b128 v[8:11], v161 offset:4992
	;; [unrolled: 1-line block ×11, first 2 shown]
	s_waitcnt lgkmcnt(9)
	v_mul_f64 v[48:49], v[62:63], v[10:11]
	v_fmac_f64_e32 v[48:49], v[60:61], v[8:9]
	v_mul_f64 v[8:9], v[62:63], v[8:9]
	v_fma_f64 v[10:11], v[60:61], v[10:11], -v[8:9]
	s_waitcnt lgkmcnt(8)
	v_mul_f64 v[8:9], v[66:67], v[12:13]
	v_mul_f64 v[50:51], v[66:67], v[14:15]
	v_fma_f64 v[14:15], v[64:65], v[14:15], -v[8:9]
	s_waitcnt lgkmcnt(5)
	v_mul_f64 v[8:9], v[70:71], v[24:25]
	;; [unrolled: 4-line block ×5, first 2 shown]
	v_mul_f64 v[8:9], v[82:83], v[44:45]
	v_fmac_f64_e32 v[50:51], v[64:65], v[12:13]
	v_fmac_f64_e32 v[52:53], v[68:69], v[24:25]
	;; [unrolled: 1-line block ×5, first 2 shown]
	v_fma_f64 v[46:47], v[80:81], v[46:47], -v[8:9]
	v_add_f64 v[8:9], v[0:1], -v[48:49]
	v_add_f64 v[10:11], v[2:3], -v[10:11]
	v_fma_f64 v[0:1], v[0:1], 2.0, -v[8:9]
	v_fma_f64 v[2:3], v[2:3], 2.0, -v[10:11]
	v_add_f64 v[12:13], v[4:5], -v[50:51]
	v_add_f64 v[14:15], v[6:7], -v[14:15]
	;; [unrolled: 1-line block ×10, first 2 shown]
	v_fma_f64 v[4:5], v[4:5], 2.0, -v[12:13]
	v_fma_f64 v[6:7], v[6:7], 2.0, -v[14:15]
	;; [unrolled: 1-line block ×10, first 2 shown]
	ds_write_b128 v161, v[0:3]
	ds_write_b128 v161, v[8:11] offset:4992
	ds_write_b128 v161, v[4:7] offset:832
	ds_write_b128 v161, v[12:15] offset:5824
	ds_write_b128 v161, v[16:19] offset:1664
	ds_write_b128 v161, v[24:27] offset:6656
	ds_write_b128 v161, v[20:23] offset:2496
	ds_write_b128 v161, v[28:31] offset:7488
	ds_write_b128 v161, v[32:35] offset:3328
	ds_write_b128 v161, v[40:43] offset:8320
	ds_write_b128 v161, v[36:39] offset:4160
	ds_write_b128 v161, v[44:47] offset:9152
	s_waitcnt lgkmcnt(0)
	; wave barrier
	s_waitcnt lgkmcnt(0)
	s_and_b64 exec, exec, vcc
	s_cbranch_execz .LBB0_15
; %bb.14:
	global_load_dwordx4 v[0:3], v164, s[8:9]
	global_load_dwordx4 v[4:7], v164, s[8:9] offset:768
	global_load_dwordx4 v[8:11], v164, s[8:9] offset:1536
	;; [unrolled: 1-line block ×4, first 2 shown]
	ds_read_b128 v[24:27], v161
	v_mov_b32_e32 v165, 0
	v_mad_u64_u32 v[48:49], s[2:3], s4, v216, 0
	ds_read_b128 v[36:39], v214 offset:768
	ds_read_b128 v[32:35], v214 offset:1536
	;; [unrolled: 1-line block ×4, first 2 shown]
	global_load_dwordx4 v[40:43], v164, s[8:9] offset:3840
	v_mad_u64_u32 v[46:47], s[0:1], s6, v252, 0
	s_movk_i32 s3, 0x1000
	v_or_b32_e32 v83, 0x180, v216
	v_lshl_add_u64 v[66:67], s[8:9], 0, v[164:165]
	v_or_b32_e32 v84, 0x240, v216
	v_mov_b32_e32 v50, v47
	v_mov_b32_e32 v52, v49
	v_lshlrev_b32_e32 v47, 4, v83
	v_add_co_u32_e32 v68, vcc, s3, v66
	v_lshlrev_b32_e32 v49, 4, v84
	v_mad_u64_u32 v[62:63], s[6:7], s7, v252, v[50:51]
	v_mad_u64_u32 v[64:65], s[6:7], s5, v216, v[52:53]
	v_addc_co_u32_e32 v69, vcc, 0, v67, vcc
	global_load_dwordx4 v[50:53], v47, s[8:9]
	global_load_dwordx4 v[54:57], v49, s[8:9]
	global_load_dwordx4 v[58:61], v[68:69], off offset:512
	v_mov_b32_e32 v47, v62
	v_mov_b32_e32 v49, v64
	global_load_dwordx4 v[62:65], v[68:69], off offset:1280
	v_mov_b32_e32 v44, s12
	v_mov_b32_e32 v45, s13
	v_lshl_add_u64 v[44:45], v[46:47], 4, v[44:45]
	v_mov_b32_e32 v82, 0x300
	v_lshl_add_u64 v[46:47], v[48:49], 4, v[44:45]
	s_mul_i32 s2, s5, 0x300
	v_mad_u64_u32 v[48:49], s[6:7], s4, v82, v[46:47]
	v_add_u32_e32 v49, s2, v49
	s_mov_b32 s0, 0x1a41a41a
	v_mad_u64_u32 v[70:71], s[6:7], s4, v82, v[48:49]
	s_mov_b32 s1, 0x3f5a41a4
	v_add_u32_e32 v71, s2, v71
	v_mad_u64_u32 v[72:73], s[6:7], s4, v82, v[70:71]
	v_add_u32_e32 v73, s2, v73
	s_movk_i32 s3, 0x2000
	s_waitcnt vmcnt(9) lgkmcnt(4)
	v_mul_f64 v[74:75], v[26:27], v[2:3]
	v_mul_f64 v[2:3], v[24:25], v[2:3]
	s_waitcnt vmcnt(8) lgkmcnt(3)
	v_mul_f64 v[76:77], v[38:39], v[6:7]
	v_mul_f64 v[6:7], v[36:37], v[6:7]
	;; [unrolled: 3-line block ×4, first 2 shown]
	v_fmac_f64_e32 v[74:75], v[24:25], v[0:1]
	v_fma_f64 v[2:3], v[0:1], v[26:27], -v[2:3]
	global_load_dwordx4 v[24:27], v[68:69], off offset:2816
	v_fmac_f64_e32 v[76:77], v[36:37], v[4:5]
	v_fma_f64 v[6:7], v[4:5], v[38:39], -v[6:7]
	v_fmac_f64_e32 v[78:79], v[32:33], v[8:9]
	v_fma_f64 v[10:11], v[8:9], v[34:35], -v[10:11]
	;; [unrolled: 2-line block ×3, first 2 shown]
	v_mul_f64 v[0:1], v[74:75], s[0:1]
	v_mul_f64 v[2:3], v[2:3], s[0:1]
	;; [unrolled: 1-line block ×8, first 2 shown]
	global_store_dwordx4 v[46:47], v[0:3], off
	global_store_dwordx4 v[48:49], v[4:7], off
	;; [unrolled: 1-line block ×4, first 2 shown]
	global_load_dwordx4 v[4:7], v[68:69], off offset:3584
	v_add_co_u32_e32 v8, vcc, s3, v66
	v_or_b32_e32 v13, 0xc0, v216
	s_nop 0
	v_addc_co_u32_e32 v9, vcc, 0, v67, vcc
	global_load_dwordx4 v[8:11], v[8:9], off offset:256
	s_waitcnt vmcnt(12) lgkmcnt(0)
	v_mul_f64 v[0:1], v[22:23], v[18:19]
	v_mul_f64 v[2:3], v[20:21], v[18:19]
	v_fmac_f64_e32 v[0:1], v[20:21], v[16:17]
	v_fma_f64 v[2:3], v[16:17], v[22:23], -v[2:3]
	v_mad_u64_u32 v[16:17], s[6:7], s4, v13, 0
	v_mov_b32_e32 v12, v17
	v_mad_u64_u32 v[18:19], s[6:7], s5, v13, v[12:13]
	ds_read_b128 v[12:15], v214 offset:3840
	v_mov_b32_e32 v17, v18
	v_mul_f64 v[0:1], v[0:1], s[0:1]
	v_mul_f64 v[2:3], v[2:3], s[0:1]
	v_lshl_add_u64 v[16:17], v[16:17], 4, v[44:45]
	global_store_dwordx4 v[16:17], v[0:3], off
	ds_read_b128 v[0:3], v214 offset:4608
	s_waitcnt vmcnt(12) lgkmcnt(1)
	v_mul_f64 v[16:17], v[14:15], v[42:43]
	v_fmac_f64_e32 v[16:17], v[12:13], v[40:41]
	v_mul_f64 v[12:13], v[12:13], v[42:43]
	v_fma_f64 v[12:13], v[40:41], v[14:15], -v[12:13]
	v_mul_f64 v[18:19], v[12:13], s[0:1]
	s_waitcnt vmcnt(9) lgkmcnt(0)
	v_mul_f64 v[12:13], v[2:3], v[60:61]
	v_fmac_f64_e32 v[12:13], v[0:1], v[58:59]
	v_mul_f64 v[0:1], v[0:1], v[60:61]
	v_mov_b32_e32 v22, 0x600
	v_fma_f64 v[0:1], v[58:59], v[2:3], -v[0:1]
	v_mad_u64_u32 v[20:21], s[6:7], s4, v22, v[72:73]
	s_mul_i32 s3, s5, 0x600
	v_mul_f64 v[14:15], v[0:1], s[0:1]
	ds_read_b128 v[0:3], v214 offset:5376
	v_mul_f64 v[16:17], v[16:17], s[0:1]
	v_add_u32_e32 v21, s3, v21
	global_store_dwordx4 v[20:21], v[16:19], off
	v_mad_u64_u32 v[20:21], s[6:7], s4, v82, v[20:21]
	v_mul_f64 v[12:13], v[12:13], s[0:1]
	v_add_u32_e32 v21, s2, v21
	global_store_dwordx4 v[20:21], v[12:15], off
	ds_read_b128 v[12:15], v214 offset:6144
	s_waitcnt vmcnt(10) lgkmcnt(1)
	v_mul_f64 v[16:17], v[2:3], v[64:65]
	v_fmac_f64_e32 v[16:17], v[0:1], v[62:63]
	v_mul_f64 v[0:1], v[0:1], v[64:65]
	v_fma_f64 v[0:1], v[62:63], v[2:3], -v[0:1]
	v_mad_u64_u32 v[20:21], s[6:7], s4, v82, v[20:21]
	v_mul_f64 v[16:17], v[16:17], s[0:1]
	v_mul_f64 v[18:19], v[0:1], s[0:1]
	v_add_u32_e32 v21, s2, v21
	global_store_dwordx4 v[20:21], v[16:19], off
	s_waitcnt lgkmcnt(0)
	v_mul_f64 v[0:1], v[14:15], v[52:53]
	v_fmac_f64_e32 v[0:1], v[12:13], v[50:51]
	v_mad_u64_u32 v[16:17], s[6:7], s4, v83, 0
	v_mul_f64 v[2:3], v[12:13], v[52:53]
	v_mov_b32_e32 v12, v17
	v_fma_f64 v[2:3], v[50:51], v[14:15], -v[2:3]
	v_mad_u64_u32 v[18:19], s[6:7], s5, v83, v[12:13]
	ds_read_b128 v[12:15], v214 offset:6912
	v_mov_b32_e32 v17, v18
	v_mul_f64 v[0:1], v[0:1], s[0:1]
	v_mul_f64 v[2:3], v[2:3], s[0:1]
	v_lshl_add_u64 v[16:17], v[16:17], 4, v[44:45]
	global_store_dwordx4 v[16:17], v[0:3], off
	ds_read_b128 v[0:3], v214 offset:7680
	s_waitcnt vmcnt(11) lgkmcnt(1)
	v_mul_f64 v[16:17], v[14:15], v[26:27]
	v_fmac_f64_e32 v[16:17], v[12:13], v[24:25]
	v_mul_f64 v[12:13], v[12:13], v[26:27]
	v_fma_f64 v[12:13], v[24:25], v[14:15], -v[12:13]
	v_mul_f64 v[18:19], v[12:13], s[0:1]
	v_mad_u64_u32 v[20:21], s[6:7], s4, v22, v[20:21]
	s_waitcnt vmcnt(6) lgkmcnt(0)
	v_mul_f64 v[12:13], v[2:3], v[6:7]
	v_fmac_f64_e32 v[12:13], v[0:1], v[4:5]
	v_mul_f64 v[0:1], v[0:1], v[6:7]
	v_fma_f64 v[0:1], v[4:5], v[2:3], -v[0:1]
	v_mul_f64 v[14:15], v[0:1], s[0:1]
	ds_read_b128 v[0:3], v214 offset:8448
	ds_read_b128 v[4:7], v214 offset:9216
	v_mul_f64 v[16:17], v[16:17], s[0:1]
	v_add_u32_e32 v21, s3, v21
	global_store_dwordx4 v[20:21], v[16:19], off
	v_mul_f64 v[12:13], v[12:13], s[0:1]
	s_nop 0
	v_mad_u64_u32 v[16:17], s[6:7], s4, v82, v[20:21]
	v_add_u32_e32 v17, s2, v17
	global_store_dwordx4 v[16:17], v[12:15], off
	s_waitcnt vmcnt(7) lgkmcnt(1)
	s_nop 0
	v_mul_f64 v[12:13], v[2:3], v[10:11]
	v_fmac_f64_e32 v[12:13], v[0:1], v[8:9]
	v_mul_f64 v[0:1], v[0:1], v[10:11]
	v_fma_f64 v[0:1], v[8:9], v[2:3], -v[0:1]
	v_mul_f64 v[14:15], v[0:1], s[0:1]
	v_mad_u64_u32 v[0:1], s[6:7], s4, v82, v[16:17]
	v_mul_f64 v[12:13], v[12:13], s[0:1]
	v_add_u32_e32 v1, s2, v1
	global_store_dwordx4 v[0:1], v[12:15], off
	s_waitcnt lgkmcnt(0)
	v_mul_f64 v[0:1], v[6:7], v[56:57]
	v_mul_f64 v[2:3], v[4:5], v[56:57]
	v_fmac_f64_e32 v[0:1], v[4:5], v[54:55]
	v_fma_f64 v[2:3], v[54:55], v[6:7], -v[2:3]
	v_mul_f64 v[0:1], v[0:1], s[0:1]
	v_mul_f64 v[2:3], v[2:3], s[0:1]
	v_mad_u64_u32 v[4:5], s[0:1], s4, v84, 0
	v_mov_b32_e32 v6, v5
	v_mad_u64_u32 v[6:7], s[0:1], s5, v84, v[6:7]
	v_mov_b32_e32 v5, v6
	v_lshl_add_u64 v[4:5], v[4:5], 4, v[44:45]
	global_store_dwordx4 v[4:5], v[0:3], off
.LBB0_15:
	s_endpgm
	.section	.rodata,"a",@progbits
	.p2align	6, 0x0
	.amdhsa_kernel bluestein_single_back_len624_dim1_dp_op_CI_CI
		.amdhsa_group_segment_fixed_size 9984
		.amdhsa_private_segment_fixed_size 0
		.amdhsa_kernarg_size 104
		.amdhsa_user_sgpr_count 2
		.amdhsa_user_sgpr_dispatch_ptr 0
		.amdhsa_user_sgpr_queue_ptr 0
		.amdhsa_user_sgpr_kernarg_segment_ptr 1
		.amdhsa_user_sgpr_dispatch_id 0
		.amdhsa_user_sgpr_kernarg_preload_length 0
		.amdhsa_user_sgpr_kernarg_preload_offset 0
		.amdhsa_user_sgpr_private_segment_size 0
		.amdhsa_uses_dynamic_stack 0
		.amdhsa_enable_private_segment 0
		.amdhsa_system_sgpr_workgroup_id_x 1
		.amdhsa_system_sgpr_workgroup_id_y 0
		.amdhsa_system_sgpr_workgroup_id_z 0
		.amdhsa_system_sgpr_workgroup_info 0
		.amdhsa_system_vgpr_workitem_id 0
		.amdhsa_next_free_vgpr 259
		.amdhsa_next_free_sgpr 48
		.amdhsa_accum_offset 256
		.amdhsa_reserve_vcc 1
		.amdhsa_float_round_mode_32 0
		.amdhsa_float_round_mode_16_64 0
		.amdhsa_float_denorm_mode_32 3
		.amdhsa_float_denorm_mode_16_64 3
		.amdhsa_dx10_clamp 1
		.amdhsa_ieee_mode 1
		.amdhsa_fp16_overflow 0
		.amdhsa_tg_split 0
		.amdhsa_exception_fp_ieee_invalid_op 0
		.amdhsa_exception_fp_denorm_src 0
		.amdhsa_exception_fp_ieee_div_zero 0
		.amdhsa_exception_fp_ieee_overflow 0
		.amdhsa_exception_fp_ieee_underflow 0
		.amdhsa_exception_fp_ieee_inexact 0
		.amdhsa_exception_int_div_zero 0
	.end_amdhsa_kernel
	.text
.Lfunc_end0:
	.size	bluestein_single_back_len624_dim1_dp_op_CI_CI, .Lfunc_end0-bluestein_single_back_len624_dim1_dp_op_CI_CI
                                        ; -- End function
	.section	.AMDGPU.csdata,"",@progbits
; Kernel info:
; codeLenInByte = 16616
; NumSgprs: 54
; NumVgprs: 256
; NumAgprs: 3
; TotalNumVgprs: 259
; ScratchSize: 0
; MemoryBound: 0
; FloatMode: 240
; IeeeMode: 1
; LDSByteSize: 9984 bytes/workgroup (compile time only)
; SGPRBlocks: 6
; VGPRBlocks: 32
; NumSGPRsForWavesPerEU: 54
; NumVGPRsForWavesPerEU: 259
; AccumOffset: 256
; Occupancy: 1
; WaveLimiterHint : 1
; COMPUTE_PGM_RSRC2:SCRATCH_EN: 0
; COMPUTE_PGM_RSRC2:USER_SGPR: 2
; COMPUTE_PGM_RSRC2:TRAP_HANDLER: 0
; COMPUTE_PGM_RSRC2:TGID_X_EN: 1
; COMPUTE_PGM_RSRC2:TGID_Y_EN: 0
; COMPUTE_PGM_RSRC2:TGID_Z_EN: 0
; COMPUTE_PGM_RSRC2:TIDIG_COMP_CNT: 0
; COMPUTE_PGM_RSRC3_GFX90A:ACCUM_OFFSET: 63
; COMPUTE_PGM_RSRC3_GFX90A:TG_SPLIT: 0
	.text
	.p2alignl 6, 3212836864
	.fill 256, 4, 3212836864
	.type	__hip_cuid_be224f613e1cc014,@object ; @__hip_cuid_be224f613e1cc014
	.section	.bss,"aw",@nobits
	.globl	__hip_cuid_be224f613e1cc014
__hip_cuid_be224f613e1cc014:
	.byte	0                               ; 0x0
	.size	__hip_cuid_be224f613e1cc014, 1

	.ident	"AMD clang version 19.0.0git (https://github.com/RadeonOpenCompute/llvm-project roc-6.4.0 25133 c7fe45cf4b819c5991fe208aaa96edf142730f1d)"
	.section	".note.GNU-stack","",@progbits
	.addrsig
	.addrsig_sym __hip_cuid_be224f613e1cc014
	.amdgpu_metadata
---
amdhsa.kernels:
  - .agpr_count:     3
    .args:
      - .actual_access:  read_only
        .address_space:  global
        .offset:         0
        .size:           8
        .value_kind:     global_buffer
      - .actual_access:  read_only
        .address_space:  global
        .offset:         8
        .size:           8
        .value_kind:     global_buffer
      - .actual_access:  read_only
        .address_space:  global
        .offset:         16
        .size:           8
        .value_kind:     global_buffer
      - .actual_access:  read_only
        .address_space:  global
        .offset:         24
        .size:           8
        .value_kind:     global_buffer
      - .actual_access:  read_only
        .address_space:  global
        .offset:         32
        .size:           8
        .value_kind:     global_buffer
      - .offset:         40
        .size:           8
        .value_kind:     by_value
      - .address_space:  global
        .offset:         48
        .size:           8
        .value_kind:     global_buffer
      - .address_space:  global
        .offset:         56
        .size:           8
        .value_kind:     global_buffer
      - .address_space:  global
        .offset:         64
        .size:           8
        .value_kind:     global_buffer
      - .address_space:  global
        .offset:         72
        .size:           8
        .value_kind:     global_buffer
      - .offset:         80
        .size:           4
        .value_kind:     by_value
      - .address_space:  global
        .offset:         88
        .size:           8
        .value_kind:     global_buffer
      - .address_space:  global
        .offset:         96
        .size:           8
        .value_kind:     global_buffer
    .group_segment_fixed_size: 9984
    .kernarg_segment_align: 8
    .kernarg_segment_size: 104
    .language:       OpenCL C
    .language_version:
      - 2
      - 0
    .max_flat_workgroup_size: 52
    .name:           bluestein_single_back_len624_dim1_dp_op_CI_CI
    .private_segment_fixed_size: 0
    .sgpr_count:     54
    .sgpr_spill_count: 0
    .symbol:         bluestein_single_back_len624_dim1_dp_op_CI_CI.kd
    .uniform_work_group_size: 1
    .uses_dynamic_stack: false
    .vgpr_count:     259
    .vgpr_spill_count: 0
    .wavefront_size: 64
amdhsa.target:   amdgcn-amd-amdhsa--gfx950
amdhsa.version:
  - 1
  - 2
...

	.end_amdgpu_metadata
